;; amdgpu-corpus repo=ROCm/rocFFT kind=compiled arch=gfx1201 opt=O3
	.text
	.amdgcn_target "amdgcn-amd-amdhsa--gfx1201"
	.amdhsa_code_object_version 6
	.protected	fft_rtc_back_len2028_factors_13_4_3_13_wgs_156_tpt_156_sp_ip_CI_unitstride_sbrr_R2C_dirReg ; -- Begin function fft_rtc_back_len2028_factors_13_4_3_13_wgs_156_tpt_156_sp_ip_CI_unitstride_sbrr_R2C_dirReg
	.globl	fft_rtc_back_len2028_factors_13_4_3_13_wgs_156_tpt_156_sp_ip_CI_unitstride_sbrr_R2C_dirReg
	.p2align	8
	.type	fft_rtc_back_len2028_factors_13_4_3_13_wgs_156_tpt_156_sp_ip_CI_unitstride_sbrr_R2C_dirReg,@function
fft_rtc_back_len2028_factors_13_4_3_13_wgs_156_tpt_156_sp_ip_CI_unitstride_sbrr_R2C_dirReg: ; @fft_rtc_back_len2028_factors_13_4_3_13_wgs_156_tpt_156_sp_ip_CI_unitstride_sbrr_R2C_dirReg
; %bb.0:
	s_clause 0x2
	s_load_b128 s[4:7], s[0:1], 0x0
	s_load_b64 s[8:9], s[0:1], 0x50
	s_load_b64 s[10:11], s[0:1], 0x18
	v_mul_u32_u24_e32 v1, 0x1a5, v0
	v_mov_b32_e32 v3, 0
	s_delay_alu instid0(VALU_DEP_2) | instskip(NEXT) | instid1(VALU_DEP_1)
	v_lshrrev_b32_e32 v1, 16, v1
	v_add_nc_u32_e32 v5, ttmp9, v1
	v_mov_b32_e32 v1, 0
	v_mov_b32_e32 v2, 0
	;; [unrolled: 1-line block ×3, first 2 shown]
	s_wait_kmcnt 0x0
	v_cmp_lt_u64_e64 s2, s[6:7], 2
	s_delay_alu instid0(VALU_DEP_1)
	s_and_b32 vcc_lo, exec_lo, s2
	s_cbranch_vccnz .LBB0_8
; %bb.1:
	s_load_b64 s[2:3], s[0:1], 0x10
	v_mov_b32_e32 v1, 0
	v_mov_b32_e32 v2, 0
	s_add_nc_u64 s[12:13], s[10:11], 8
	s_mov_b64 s[14:15], 1
	s_wait_kmcnt 0x0
	s_add_nc_u64 s[16:17], s[2:3], 8
	s_mov_b32 s3, 0
.LBB0_2:                                ; =>This Inner Loop Header: Depth=1
	s_load_b64 s[18:19], s[16:17], 0x0
                                        ; implicit-def: $vgpr7_vgpr8
	s_mov_b32 s2, exec_lo
	s_wait_kmcnt 0x0
	v_or_b32_e32 v4, s19, v6
	s_delay_alu instid0(VALU_DEP_1)
	v_cmpx_ne_u64_e32 0, v[3:4]
	s_wait_alu 0xfffe
	s_xor_b32 s20, exec_lo, s2
	s_cbranch_execz .LBB0_4
; %bb.3:                                ;   in Loop: Header=BB0_2 Depth=1
	s_cvt_f32_u32 s2, s18
	s_cvt_f32_u32 s21, s19
	s_sub_nc_u64 s[24:25], 0, s[18:19]
	s_wait_alu 0xfffe
	s_delay_alu instid0(SALU_CYCLE_1) | instskip(SKIP_1) | instid1(SALU_CYCLE_2)
	s_fmamk_f32 s2, s21, 0x4f800000, s2
	s_wait_alu 0xfffe
	v_s_rcp_f32 s2, s2
	s_delay_alu instid0(TRANS32_DEP_1) | instskip(SKIP_1) | instid1(SALU_CYCLE_2)
	s_mul_f32 s2, s2, 0x5f7ffffc
	s_wait_alu 0xfffe
	s_mul_f32 s21, s2, 0x2f800000
	s_wait_alu 0xfffe
	s_delay_alu instid0(SALU_CYCLE_2) | instskip(SKIP_1) | instid1(SALU_CYCLE_2)
	s_trunc_f32 s21, s21
	s_wait_alu 0xfffe
	s_fmamk_f32 s2, s21, 0xcf800000, s2
	s_cvt_u32_f32 s23, s21
	s_wait_alu 0xfffe
	s_delay_alu instid0(SALU_CYCLE_1) | instskip(SKIP_1) | instid1(SALU_CYCLE_2)
	s_cvt_u32_f32 s22, s2
	s_wait_alu 0xfffe
	s_mul_u64 s[26:27], s[24:25], s[22:23]
	s_wait_alu 0xfffe
	s_mul_hi_u32 s29, s22, s27
	s_mul_i32 s28, s22, s27
	s_mul_hi_u32 s2, s22, s26
	s_mul_i32 s30, s23, s26
	s_wait_alu 0xfffe
	s_add_nc_u64 s[28:29], s[2:3], s[28:29]
	s_mul_hi_u32 s21, s23, s26
	s_mul_hi_u32 s31, s23, s27
	s_add_co_u32 s2, s28, s30
	s_wait_alu 0xfffe
	s_add_co_ci_u32 s2, s29, s21
	s_mul_i32 s26, s23, s27
	s_add_co_ci_u32 s27, s31, 0
	s_wait_alu 0xfffe
	s_add_nc_u64 s[26:27], s[2:3], s[26:27]
	s_wait_alu 0xfffe
	v_add_co_u32 v4, s2, s22, s26
	s_delay_alu instid0(VALU_DEP_1) | instskip(SKIP_1) | instid1(VALU_DEP_1)
	s_cmp_lg_u32 s2, 0
	s_add_co_ci_u32 s23, s23, s27
	v_readfirstlane_b32 s22, v4
	s_wait_alu 0xfffe
	s_delay_alu instid0(VALU_DEP_1)
	s_mul_u64 s[24:25], s[24:25], s[22:23]
	s_wait_alu 0xfffe
	s_mul_hi_u32 s27, s22, s25
	s_mul_i32 s26, s22, s25
	s_mul_hi_u32 s2, s22, s24
	s_mul_i32 s28, s23, s24
	s_wait_alu 0xfffe
	s_add_nc_u64 s[26:27], s[2:3], s[26:27]
	s_mul_hi_u32 s21, s23, s24
	s_mul_hi_u32 s22, s23, s25
	s_wait_alu 0xfffe
	s_add_co_u32 s2, s26, s28
	s_add_co_ci_u32 s2, s27, s21
	s_mul_i32 s24, s23, s25
	s_add_co_ci_u32 s25, s22, 0
	s_wait_alu 0xfffe
	s_add_nc_u64 s[24:25], s[2:3], s[24:25]
	s_wait_alu 0xfffe
	v_add_co_u32 v4, s2, v4, s24
	s_delay_alu instid0(VALU_DEP_1) | instskip(SKIP_1) | instid1(VALU_DEP_1)
	s_cmp_lg_u32 s2, 0
	s_add_co_ci_u32 s2, s23, s25
	v_mul_hi_u32 v13, v5, v4
	s_wait_alu 0xfffe
	v_mad_co_u64_u32 v[7:8], null, v5, s2, 0
	v_mad_co_u64_u32 v[9:10], null, v6, v4, 0
	;; [unrolled: 1-line block ×3, first 2 shown]
	s_delay_alu instid0(VALU_DEP_3) | instskip(SKIP_1) | instid1(VALU_DEP_4)
	v_add_co_u32 v4, vcc_lo, v13, v7
	s_wait_alu 0xfffd
	v_add_co_ci_u32_e32 v7, vcc_lo, 0, v8, vcc_lo
	s_delay_alu instid0(VALU_DEP_2) | instskip(SKIP_1) | instid1(VALU_DEP_2)
	v_add_co_u32 v4, vcc_lo, v4, v9
	s_wait_alu 0xfffd
	v_add_co_ci_u32_e32 v4, vcc_lo, v7, v10, vcc_lo
	s_wait_alu 0xfffd
	v_add_co_ci_u32_e32 v7, vcc_lo, 0, v12, vcc_lo
	s_delay_alu instid0(VALU_DEP_2) | instskip(SKIP_1) | instid1(VALU_DEP_2)
	v_add_co_u32 v4, vcc_lo, v4, v11
	s_wait_alu 0xfffd
	v_add_co_ci_u32_e32 v9, vcc_lo, 0, v7, vcc_lo
	s_delay_alu instid0(VALU_DEP_2) | instskip(SKIP_1) | instid1(VALU_DEP_3)
	v_mul_lo_u32 v10, s19, v4
	v_mad_co_u64_u32 v[7:8], null, s18, v4, 0
	v_mul_lo_u32 v11, s18, v9
	s_delay_alu instid0(VALU_DEP_2) | instskip(NEXT) | instid1(VALU_DEP_2)
	v_sub_co_u32 v7, vcc_lo, v5, v7
	v_add3_u32 v8, v8, v11, v10
	s_delay_alu instid0(VALU_DEP_1) | instskip(SKIP_1) | instid1(VALU_DEP_1)
	v_sub_nc_u32_e32 v10, v6, v8
	s_wait_alu 0xfffd
	v_subrev_co_ci_u32_e64 v10, s2, s19, v10, vcc_lo
	v_add_co_u32 v11, s2, v4, 2
	s_wait_alu 0xf1ff
	v_add_co_ci_u32_e64 v12, s2, 0, v9, s2
	v_sub_co_u32 v13, s2, v7, s18
	v_sub_co_ci_u32_e32 v8, vcc_lo, v6, v8, vcc_lo
	s_wait_alu 0xf1ff
	v_subrev_co_ci_u32_e64 v10, s2, 0, v10, s2
	s_delay_alu instid0(VALU_DEP_3) | instskip(NEXT) | instid1(VALU_DEP_3)
	v_cmp_le_u32_e32 vcc_lo, s18, v13
	v_cmp_eq_u32_e64 s2, s19, v8
	s_wait_alu 0xfffd
	v_cndmask_b32_e64 v13, 0, -1, vcc_lo
	v_cmp_le_u32_e32 vcc_lo, s19, v10
	s_wait_alu 0xfffd
	v_cndmask_b32_e64 v14, 0, -1, vcc_lo
	v_cmp_le_u32_e32 vcc_lo, s18, v7
	;; [unrolled: 3-line block ×3, first 2 shown]
	s_wait_alu 0xfffd
	v_cndmask_b32_e64 v15, 0, -1, vcc_lo
	v_cmp_eq_u32_e32 vcc_lo, s19, v10
	s_wait_alu 0xf1ff
	s_delay_alu instid0(VALU_DEP_2)
	v_cndmask_b32_e64 v7, v15, v7, s2
	s_wait_alu 0xfffd
	v_cndmask_b32_e32 v10, v14, v13, vcc_lo
	v_add_co_u32 v13, vcc_lo, v4, 1
	s_wait_alu 0xfffd
	v_add_co_ci_u32_e32 v14, vcc_lo, 0, v9, vcc_lo
	s_delay_alu instid0(VALU_DEP_3) | instskip(SKIP_2) | instid1(VALU_DEP_3)
	v_cmp_ne_u32_e32 vcc_lo, 0, v10
	s_wait_alu 0xfffd
	v_cndmask_b32_e32 v10, v13, v11, vcc_lo
	v_cndmask_b32_e32 v8, v14, v12, vcc_lo
	v_cmp_ne_u32_e32 vcc_lo, 0, v7
	s_wait_alu 0xfffd
	s_delay_alu instid0(VALU_DEP_2)
	v_dual_cndmask_b32 v7, v4, v10 :: v_dual_cndmask_b32 v8, v9, v8
.LBB0_4:                                ;   in Loop: Header=BB0_2 Depth=1
	s_wait_alu 0xfffe
	s_and_not1_saveexec_b32 s2, s20
	s_cbranch_execz .LBB0_6
; %bb.5:                                ;   in Loop: Header=BB0_2 Depth=1
	v_cvt_f32_u32_e32 v4, s18
	s_sub_co_i32 s20, 0, s18
	s_delay_alu instid0(VALU_DEP_1) | instskip(NEXT) | instid1(TRANS32_DEP_1)
	v_rcp_iflag_f32_e32 v4, v4
	v_mul_f32_e32 v4, 0x4f7ffffe, v4
	s_delay_alu instid0(VALU_DEP_1) | instskip(SKIP_1) | instid1(VALU_DEP_1)
	v_cvt_u32_f32_e32 v4, v4
	s_wait_alu 0xfffe
	v_mul_lo_u32 v7, s20, v4
	s_delay_alu instid0(VALU_DEP_1) | instskip(NEXT) | instid1(VALU_DEP_1)
	v_mul_hi_u32 v7, v4, v7
	v_add_nc_u32_e32 v4, v4, v7
	s_delay_alu instid0(VALU_DEP_1) | instskip(NEXT) | instid1(VALU_DEP_1)
	v_mul_hi_u32 v4, v5, v4
	v_mul_lo_u32 v7, v4, s18
	v_add_nc_u32_e32 v8, 1, v4
	s_delay_alu instid0(VALU_DEP_2) | instskip(NEXT) | instid1(VALU_DEP_1)
	v_sub_nc_u32_e32 v7, v5, v7
	v_subrev_nc_u32_e32 v9, s18, v7
	v_cmp_le_u32_e32 vcc_lo, s18, v7
	s_wait_alu 0xfffd
	s_delay_alu instid0(VALU_DEP_2) | instskip(NEXT) | instid1(VALU_DEP_1)
	v_dual_cndmask_b32 v7, v7, v9 :: v_dual_cndmask_b32 v4, v4, v8
	v_cmp_le_u32_e32 vcc_lo, s18, v7
	s_delay_alu instid0(VALU_DEP_2) | instskip(SKIP_1) | instid1(VALU_DEP_1)
	v_add_nc_u32_e32 v8, 1, v4
	s_wait_alu 0xfffd
	v_dual_cndmask_b32 v7, v4, v8 :: v_dual_mov_b32 v8, v3
.LBB0_6:                                ;   in Loop: Header=BB0_2 Depth=1
	s_wait_alu 0xfffe
	s_or_b32 exec_lo, exec_lo, s2
	s_load_b64 s[20:21], s[12:13], 0x0
	s_delay_alu instid0(VALU_DEP_1)
	v_mul_lo_u32 v4, v8, s18
	v_mul_lo_u32 v11, v7, s19
	v_mad_co_u64_u32 v[9:10], null, v7, s18, 0
	s_add_nc_u64 s[14:15], s[14:15], 1
	s_add_nc_u64 s[12:13], s[12:13], 8
	s_wait_alu 0xfffe
	v_cmp_ge_u64_e64 s2, s[14:15], s[6:7]
	s_add_nc_u64 s[16:17], s[16:17], 8
	s_delay_alu instid0(VALU_DEP_2) | instskip(NEXT) | instid1(VALU_DEP_3)
	v_add3_u32 v4, v10, v11, v4
	v_sub_co_u32 v5, vcc_lo, v5, v9
	s_wait_alu 0xfffd
	s_delay_alu instid0(VALU_DEP_2) | instskip(SKIP_3) | instid1(VALU_DEP_2)
	v_sub_co_ci_u32_e32 v4, vcc_lo, v6, v4, vcc_lo
	s_and_b32 vcc_lo, exec_lo, s2
	s_wait_kmcnt 0x0
	v_mul_lo_u32 v6, s21, v5
	v_mul_lo_u32 v4, s20, v4
	v_mad_co_u64_u32 v[1:2], null, s20, v5, v[1:2]
	s_delay_alu instid0(VALU_DEP_1)
	v_add3_u32 v2, v6, v2, v4
	s_wait_alu 0xfffe
	s_cbranch_vccnz .LBB0_9
; %bb.7:                                ;   in Loop: Header=BB0_2 Depth=1
	v_dual_mov_b32 v5, v7 :: v_dual_mov_b32 v6, v8
	s_branch .LBB0_2
.LBB0_8:
	v_dual_mov_b32 v8, v6 :: v_dual_mov_b32 v7, v5
.LBB0_9:
	s_lshl_b64 s[2:3], s[6:7], 3
	v_mul_hi_u32 v3, 0x1a41a42, v0
	s_wait_alu 0xfffe
	s_add_nc_u64 s[2:3], s[10:11], s[2:3]
	s_load_b64 s[0:1], s[0:1], 0x20
	s_load_b64 s[2:3], s[2:3], 0x0
	s_delay_alu instid0(VALU_DEP_1) | instskip(NEXT) | instid1(VALU_DEP_1)
	v_mul_u32_u24_e32 v3, 0x9c, v3
	v_sub_nc_u32_e32 v16, v0, v3
	s_delay_alu instid0(VALU_DEP_1)
	v_add_nc_u32_e32 v21, 0x9c, v16
	v_add_nc_u32_e32 v23, 0x138, v16
	;; [unrolled: 1-line block ×3, first 2 shown]
	s_wait_kmcnt 0x0
	v_cmp_gt_u64_e32 vcc_lo, s[0:1], v[7:8]
	v_mul_lo_u32 v3, s2, v8
	v_mul_lo_u32 v4, s3, v7
	v_mad_co_u64_u32 v[0:1], null, s2, v7, v[1:2]
	v_cmp_le_u64_e64 s0, s[0:1], v[7:8]
	s_delay_alu instid0(VALU_DEP_2) | instskip(NEXT) | instid1(VALU_DEP_2)
	v_add3_u32 v1, v4, v1, v3
	s_and_saveexec_b32 s1, s0
	s_wait_alu 0xfffe
	s_xor_b32 s0, exec_lo, s1
; %bb.10:
	v_add_nc_u32_e32 v21, 0x9c, v16
	v_add_nc_u32_e32 v23, 0x138, v16
	;; [unrolled: 1-line block ×3, first 2 shown]
; %bb.11:
	s_wait_alu 0xfffe
	s_or_saveexec_b32 s1, s0
	v_lshlrev_b64_e32 v[18:19], 3, v[0:1]
	v_lshl_add_u32 v40, v16, 3, 0
	s_wait_alu 0xfffe
	s_xor_b32 exec_lo, exec_lo, s1
	s_cbranch_execz .LBB0_13
; %bb.12:
	s_delay_alu instid0(VALU_DEP_1) | instskip(SKIP_3) | instid1(VALU_DEP_3)
	v_dual_mov_b32 v17, 0 :: v_dual_add_nc_u32 v22, 0x1200, v40
	v_add_co_u32 v2, s0, s8, v18
	s_wait_alu 0xf1ff
	v_add_co_ci_u32_e64 v3, s0, s9, v19, s0
	v_lshlrev_b64_e32 v[0:1], 3, v[16:17]
	v_add_nc_u32_e32 v17, 0x800, v40
	v_add_nc_u32_e32 v34, 0x1c00, v40
	;; [unrolled: 1-line block ×4, first 2 shown]
	v_add_co_u32 v0, s0, v2, v0
	s_wait_alu 0xf1ff
	v_add_co_ci_u32_e64 v1, s0, v3, v1, s0
	s_clause 0xc
	global_load_b64 v[2:3], v[0:1], off
	global_load_b64 v[4:5], v[0:1], off offset:1248
	global_load_b64 v[6:7], v[0:1], off offset:2496
	;; [unrolled: 1-line block ×12, first 2 shown]
	s_wait_loadcnt 0xb
	ds_store_2addr_b64 v40, v[2:3], v[4:5] offset1:156
	s_wait_loadcnt 0x9
	ds_store_2addr_b64 v17, v[6:7], v[8:9] offset0:56 offset1:212
	s_wait_loadcnt 0x7
	ds_store_2addr_b64 v22, v[10:11], v[12:13] offset0:48 offset1:204
	;; [unrolled: 2-line block ×5, first 2 shown]
	s_wait_loadcnt 0x0
	ds_store_b64 v40, v[0:1] offset:14976
.LBB0_13:
	s_or_b32 exec_lo, exec_lo, s1
	global_wb scope:SCOPE_SE
	s_wait_dscnt 0x0
	s_barrier_signal -1
	s_barrier_wait -1
	global_inv scope:SCOPE_SE
	ds_load_2addr_b64 v[24:27], v40 offset1:156
	v_add_nc_u32_e32 v0, 0x800, v40
	ds_load_b64 v[12:13], v40 offset:14976
	ds_load_2addr_b64 v[28:31], v0 offset0:56 offset1:212
	v_add_nc_u32_e32 v0, 0x1200, v40
	v_add_nc_u32_e32 v1, 0x1c00, v40
	;; [unrolled: 1-line block ×4, first 2 shown]
	v_cmp_gt_u32_e64 s0, 39, v16
	s_wait_dscnt 0x1
	v_dual_add_f32 v17, v25, v27 :: v_dual_sub_f32 v36, v27, v13
	v_dual_add_f32 v22, v12, v26 :: v_dual_add_f32 v27, v13, v27
	ds_load_2addr_b64 v[4:7], v0 offset0:48 offset1:204
	ds_load_2addr_b64 v[0:3], v1 offset0:40 offset1:196
	ds_load_2addr_b64 v[8:11], v14 offset0:96 offset1:252
	ds_load_2addr_b64 v[32:35], v15 offset0:24 offset1:180
	v_dual_add_f32 v15, v24, v26 :: v_dual_sub_f32 v26, v26, v12
	s_wait_dscnt 0x4
	v_dual_add_f32 v17, v17, v29 :: v_dual_mul_f32 v38, 0x3f62ad3f, v27
	v_mul_f32_e32 v37, 0xbeedf032, v36
	s_delay_alu instid0(VALU_DEP_3) | instskip(NEXT) | instid1(VALU_DEP_3)
	v_add_f32_e32 v15, v15, v28
	v_dual_mul_f32 v42, 0xbf7e222b, v36 :: v_dual_add_f32 v17, v17, v31
	v_mul_f32_e32 v44, 0xbf6f5d39, v36
	v_fmamk_f32 v47, v26, 0x3eedf032, v38
	s_delay_alu instid0(VALU_DEP_4)
	v_add_f32_e32 v15, v15, v30
	v_fmac_f32_e32 v38, 0xbeedf032, v26
	v_fmamk_f32 v46, v22, 0x3f62ad3f, v37
	v_mul_f32_e32 v39, 0xbf52af12, v36
	v_dual_mul_f32 v43, 0x3df6dbef, v27 :: v_dual_fmamk_f32 v50, v22, 0x3df6dbef, v42
	s_wait_dscnt 0x3
	s_delay_alu instid0(VALU_DEP_3) | instskip(NEXT) | instid1(VALU_DEP_3)
	v_dual_add_f32 v15, v15, v4 :: v_dual_add_f32 v46, v24, v46
	v_dual_mul_f32 v41, 0x3f116cb1, v27 :: v_dual_fmamk_f32 v48, v22, 0x3f116cb1, v39
	s_delay_alu instid0(VALU_DEP_3) | instskip(SKIP_1) | instid1(VALU_DEP_2)
	v_dual_add_f32 v17, v17, v5 :: v_dual_add_f32 v50, v24, v50
	v_dual_mul_f32 v45, 0xbeb58ec6, v27 :: v_dual_fmamk_f32 v52, v22, 0xbeb58ec6, v44
	v_dual_add_f32 v48, v24, v48 :: v_dual_add_f32 v17, v17, v7
	v_mul_f32_e32 v53, 0xbf3f9e67, v27
	v_mul_f32_e32 v27, 0xbf788fa5, v27
	v_add_f32_e32 v15, v15, v6
	s_wait_dscnt 0x0
	v_sub_f32_e32 v57, v29, v35
	v_add_f32_e32 v17, v17, v1
	v_add_f32_e32 v29, v35, v29
	;; [unrolled: 1-line block ×3, first 2 shown]
	v_fmamk_f32 v58, v26, 0x3e750f2a, v27
	v_fma_f32 v37, 0x3f62ad3f, v22, -v37
	v_add_f32_e32 v17, v17, v3
	v_fma_f32 v39, 0x3f116cb1, v22, -v39
	v_fma_f32 v42, 0x3df6dbef, v22, -v42
	;; [unrolled: 1-line block ×3, first 2 shown]
	v_fmac_f32_e32 v27, 0xbe750f2a, v26
	v_add_f32_e32 v17, v17, v9
	s_delay_alu instid0(VALU_DEP_4) | instskip(NEXT) | instid1(VALU_DEP_4)
	v_dual_fmamk_f32 v49, v26, 0x3f52af12, v41 :: v_dual_add_f32 v42, v24, v42
	v_dual_fmac_f32 v41, 0xbf52af12, v26 :: v_dual_add_f32 v44, v24, v44
	s_delay_alu instid0(VALU_DEP_3)
	v_add_f32_e32 v17, v17, v11
	v_add_f32_e32 v38, v25, v38
	global_wb scope:SCOPE_SE
	s_barrier_signal -1
	s_barrier_wait -1
	v_add_f32_e32 v17, v17, v33
	global_inv scope:SCOPE_SE
	v_add_f32_e32 v17, v17, v35
	v_dual_add_f32 v35, v25, v58 :: v_dual_mul_f32 v58, 0xbf3f9e67, v29
	v_dual_add_f32 v47, v25, v47 :: v_dual_mul_f32 v60, 0xbf52af12, v57
	s_delay_alu instid0(VALU_DEP_3) | instskip(SKIP_4) | instid1(VALU_DEP_3)
	v_add_f32_e32 v13, v17, v13
	v_add_f32_e32 v17, v24, v52
	v_mul_f32_e32 v52, 0xbf29c268, v36
	v_add_f32_e32 v15, v15, v0
	v_dual_mul_f32 v36, 0xbe750f2a, v36 :: v_dual_add_f32 v37, v24, v37
	v_dual_add_f32 v39, v24, v39 :: v_dual_fmamk_f32 v54, v22, 0xbf3f9e67, v52
	s_delay_alu instid0(VALU_DEP_2) | instskip(SKIP_3) | instid1(VALU_DEP_4)
	v_dual_add_f32 v15, v15, v2 :: v_dual_fmamk_f32 v56, v22, 0xbf788fa5, v36
	v_fma_f32 v52, 0xbf3f9e67, v22, -v52
	v_fma_f32 v22, 0xbf788fa5, v22, -v36
	v_fmamk_f32 v51, v26, 0x3f7e222b, v43
	v_add_f32_e32 v15, v15, v8
	v_dual_fmac_f32 v43, 0xbf7e222b, v26 :: v_dual_add_f32 v56, v24, v56
	s_delay_alu instid0(VALU_DEP_4) | instskip(SKIP_1) | instid1(VALU_DEP_4)
	v_add_f32_e32 v22, v24, v22
	v_add_f32_e32 v54, v24, v54
	v_dual_add_f32 v15, v15, v10 :: v_dual_add_f32 v52, v24, v52
	v_dual_add_f32 v24, v25, v27 :: v_dual_fmamk_f32 v55, v26, 0x3f29c268, v53
	v_fma_f32 v36, 0x3f116cb1, v59, -v60
	s_delay_alu instid0(VALU_DEP_3) | instskip(NEXT) | instid1(VALU_DEP_1)
	v_add_f32_e32 v15, v15, v32
	v_add_f32_e32 v15, v15, v34
	s_delay_alu instid0(VALU_DEP_1) | instskip(SKIP_2) | instid1(VALU_DEP_2)
	v_dual_add_f32 v12, v15, v12 :: v_dual_add_f32 v15, v25, v43
	v_fmamk_f32 v43, v26, 0x3f6f5d39, v45
	v_fmac_f32_e32 v45, 0xbf6f5d39, v26
	v_add_f32_e32 v43, v25, v43
	v_fmac_f32_e32 v53, 0xbf29c268, v26
	v_sub_f32_e32 v26, v28, v34
	v_fmamk_f32 v28, v59, 0x3f116cb1, v60
	v_mul_f32_e32 v34, 0x3f116cb1, v29
	v_add_f32_e32 v41, v25, v41
	v_dual_add_f32 v51, v25, v51 :: v_dual_add_f32 v36, v36, v37
	v_add_f32_e32 v45, v25, v45
	v_add_f32_e32 v55, v25, v55
	;; [unrolled: 1-line block ×3, first 2 shown]
	v_fmamk_f32 v27, v26, 0x3f52af12, v34
	v_dual_fmac_f32 v34, 0xbf52af12, v26 :: v_dual_add_f32 v49, v25, v49
	v_dual_add_f32 v25, v28, v46 :: v_dual_mul_f32 v28, 0xbf6f5d39, v57
	s_delay_alu instid0(VALU_DEP_3) | instskip(NEXT) | instid1(VALU_DEP_3)
	v_dual_mul_f32 v46, 0xbeb58ec6, v29 :: v_dual_add_f32 v27, v27, v47
	v_add_f32_e32 v34, v34, v38
	v_mul_f32_e32 v38, 0xbe750f2a, v57
	s_delay_alu instid0(VALU_DEP_4) | instskip(NEXT) | instid1(VALU_DEP_4)
	v_fmamk_f32 v47, v59, 0xbeb58ec6, v28
	v_fmamk_f32 v37, v26, 0x3f6f5d39, v46
	v_fma_f32 v28, 0xbeb58ec6, v59, -v28
	s_delay_alu instid0(VALU_DEP_3) | instskip(SKIP_1) | instid1(VALU_DEP_2)
	v_dual_fmac_f32 v46, 0xbf6f5d39, v26 :: v_dual_add_f32 v47, v47, v48
	v_fmamk_f32 v48, v59, 0xbf788fa5, v38
	v_dual_add_f32 v28, v28, v39 :: v_dual_add_f32 v39, v46, v41
	v_mul_f32_e32 v41, 0x3f29c268, v57
	v_add_f32_e32 v37, v37, v49
	s_delay_alu instid0(VALU_DEP_4) | instskip(NEXT) | instid1(VALU_DEP_3)
	v_dual_mul_f32 v49, 0xbf788fa5, v29 :: v_dual_add_f32 v46, v48, v50
	v_fmamk_f32 v50, v59, 0xbf3f9e67, v41
	s_delay_alu instid0(VALU_DEP_2) | instskip(SKIP_1) | instid1(VALU_DEP_3)
	v_fmamk_f32 v48, v26, 0x3e750f2a, v49
	v_fmac_f32_e32 v49, 0xbe750f2a, v26
	v_add_f32_e32 v17, v50, v17
	v_mul_f32_e32 v50, 0x3df6dbef, v29
	v_fma_f32 v38, 0xbf788fa5, v59, -v38
	s_delay_alu instid0(VALU_DEP_4) | instskip(SKIP_2) | instid1(VALU_DEP_4)
	v_add_f32_e32 v15, v49, v15
	v_dual_mul_f32 v49, 0x3f7e222b, v57 :: v_dual_add_f32 v48, v48, v51
	v_fma_f32 v41, 0xbf3f9e67, v59, -v41
	v_add_f32_e32 v38, v38, v42
	v_fmamk_f32 v42, v26, 0xbf29c268, v58
	v_mul_f32_e32 v51, 0x3eedf032, v57
	v_fmac_f32_e32 v58, 0x3f29c268, v26
	s_delay_alu instid0(VALU_DEP_3) | instskip(SKIP_1) | instid1(VALU_DEP_2)
	v_dual_add_f32 v42, v42, v43 :: v_dual_fmamk_f32 v43, v59, 0x3df6dbef, v49
	v_fma_f32 v49, 0x3df6dbef, v59, -v49
	v_add_f32_e32 v43, v43, v54
	s_delay_alu instid0(VALU_DEP_2) | instskip(SKIP_3) | instid1(VALU_DEP_3)
	v_dual_add_f32 v49, v49, v52 :: v_dual_sub_f32 v52, v31, v33
	v_dual_add_f32 v31, v33, v31 :: v_dual_fmamk_f32 v54, v59, 0x3f62ad3f, v51
	v_fma_f32 v33, 0x3f62ad3f, v59, -v51
	v_add_f32_e32 v45, v58, v45
	v_mul_f32_e32 v51, 0xbf788fa5, v31
	v_dual_add_f32 v41, v41, v44 :: v_dual_fmamk_f32 v44, v26, 0xbf7e222b, v50
	v_fmac_f32_e32 v50, 0x3f7e222b, v26
	v_add_f32_e32 v22, v33, v22
	s_delay_alu instid0(VALU_DEP_3) | instskip(NEXT) | instid1(VALU_DEP_3)
	v_dual_add_f32 v44, v44, v55 :: v_dual_mul_f32 v29, 0x3f62ad3f, v29
	v_add_f32_e32 v50, v50, v53
	v_add_f32_e32 v53, v54, v56
	v_dual_add_f32 v55, v32, v30 :: v_dual_mul_f32 v56, 0xbf7e222b, v52
	s_delay_alu instid0(VALU_DEP_4) | instskip(SKIP_2) | instid1(VALU_DEP_4)
	v_fmamk_f32 v54, v26, 0xbeedf032, v29
	v_dual_fmac_f32 v29, 0x3eedf032, v26 :: v_dual_sub_f32 v26, v30, v32
	v_mul_f32_e32 v32, 0x3df6dbef, v31
	v_fmamk_f32 v30, v55, 0x3df6dbef, v56
	v_fma_f32 v33, 0x3df6dbef, v55, -v56
	s_delay_alu instid0(VALU_DEP_4) | instskip(NEXT) | instid1(VALU_DEP_4)
	v_dual_add_f32 v24, v29, v24 :: v_dual_add_f32 v35, v54, v35
	v_fmamk_f32 v29, v26, 0x3f7e222b, v32
	s_delay_alu instid0(VALU_DEP_4) | instskip(SKIP_3) | instid1(VALU_DEP_4)
	v_dual_fmac_f32 v32, 0xbf7e222b, v26 :: v_dual_add_f32 v25, v30, v25
	v_mul_f32_e32 v30, 0xbe750f2a, v52
	v_add_f32_e32 v33, v33, v36
	v_mul_f32_e32 v36, 0x3f6f5d39, v52
	v_add_f32_e32 v32, v32, v34
	v_dual_fmamk_f32 v34, v26, 0x3e750f2a, v51 :: v_dual_add_f32 v27, v29, v27
	v_fmamk_f32 v29, v55, 0xbf788fa5, v30
	v_mul_f32_e32 v54, 0x3f62ad3f, v31
	s_delay_alu instid0(VALU_DEP_3) | instskip(SKIP_1) | instid1(VALU_DEP_4)
	v_dual_add_f32 v34, v34, v37 :: v_dual_fmamk_f32 v37, v55, 0xbeb58ec6, v36
	v_fma_f32 v36, 0xbeb58ec6, v55, -v36
	v_add_f32_e32 v29, v29, v47
	s_delay_alu instid0(VALU_DEP_3) | instskip(NEXT) | instid1(VALU_DEP_3)
	v_add_f32_e32 v37, v37, v46
	v_add_f32_e32 v36, v36, v38
	v_fmamk_f32 v38, v26, 0xbeedf032, v54
	v_fmac_f32_e32 v54, 0x3eedf032, v26
	s_delay_alu instid0(VALU_DEP_2) | instskip(NEXT) | instid1(VALU_DEP_1)
	v_dual_mul_f32 v47, 0xbeb58ec6, v31 :: v_dual_add_f32 v38, v38, v42
	v_fmamk_f32 v46, v26, 0xbf6f5d39, v47
	s_delay_alu instid0(VALU_DEP_1) | instskip(NEXT) | instid1(VALU_DEP_1)
	v_dual_fmac_f32 v47, 0x3f6f5d39, v26 :: v_dual_add_f32 v46, v46, v48
	v_add_f32_e32 v15, v47, v15
	v_mul_f32_e32 v47, 0xbf52af12, v52
	v_mul_f32_e32 v48, 0x3f116cb1, v31
	s_delay_alu instid0(VALU_DEP_2) | instskip(NEXT) | instid1(VALU_DEP_1)
	v_fmamk_f32 v42, v55, 0x3f116cb1, v47
	v_add_f32_e32 v42, v42, v43
	v_fma_f32 v43, 0x3f116cb1, v55, -v47
	v_mul_f32_e32 v31, 0xbf3f9e67, v31
	v_fma_f32 v30, 0xbf788fa5, v55, -v30
	s_delay_alu instid0(VALU_DEP_3) | instskip(NEXT) | instid1(VALU_DEP_3)
	v_add_f32_e32 v43, v43, v49
	v_fmamk_f32 v49, v26, 0x3f29c268, v31
	v_fmac_f32_e32 v31, 0xbf29c268, v26
	s_delay_alu instid0(VALU_DEP_4) | instskip(NEXT) | instid1(VALU_DEP_1)
	v_dual_fmac_f32 v51, 0xbe750f2a, v26 :: v_dual_add_f32 v28, v30, v28
	v_dual_add_f32 v30, v51, v39 :: v_dual_mul_f32 v39, 0x3eedf032, v52
	s_delay_alu instid0(VALU_DEP_1) | instskip(SKIP_1) | instid1(VALU_DEP_1)
	v_fmamk_f32 v51, v55, 0x3f62ad3f, v39
	v_fma_f32 v39, 0x3f62ad3f, v55, -v39
	v_add_f32_e32 v39, v39, v41
	v_fmamk_f32 v41, v26, 0x3f52af12, v48
	v_fmac_f32_e32 v48, 0xbf52af12, v26
	s_delay_alu instid0(VALU_DEP_1)
	v_add_f32_e32 v48, v48, v50
	v_add_f32_e32 v50, v10, v4
	v_dual_sub_f32 v4, v4, v10 :: v_dual_sub_f32 v47, v5, v11
	v_add_f32_e32 v5, v11, v5
	v_add_f32_e32 v35, v49, v35
	;; [unrolled: 1-line block ×3, first 2 shown]
	s_delay_alu instid0(VALU_DEP_3) | instskip(SKIP_4) | instid1(VALU_DEP_3)
	v_mul_f32_e32 v49, 0xbf3f9e67, v5
	v_add_f32_e32 v17, v51, v17
	v_mul_f32_e32 v51, 0xbf29c268, v52
	v_mul_f32_e32 v52, 0xbf6f5d39, v47
	;; [unrolled: 1-line block ×3, first 2 shown]
	v_fma_f32 v11, 0xbf3f9e67, v55, -v51
	s_delay_alu instid0(VALU_DEP_3) | instskip(SKIP_2) | instid1(VALU_DEP_4)
	v_fmamk_f32 v10, v50, 0xbeb58ec6, v52
	v_fmamk_f32 v44, v55, 0xbf3f9e67, v51
	v_mul_f32_e32 v51, 0x3df6dbef, v5
	v_add_f32_e32 v11, v11, v22
	v_add_f32_e32 v22, v31, v24
	v_add_f32_e32 v10, v10, v25
	v_fmamk_f32 v24, v4, 0x3f6f5d39, v26
	v_mul_f32_e32 v25, 0x3f29c268, v47
	v_fma_f32 v31, 0xbeb58ec6, v50, -v52
	v_fmac_f32_e32 v26, 0xbf6f5d39, v4
	v_add_f32_e32 v44, v44, v53
	s_delay_alu instid0(VALU_DEP_4) | instskip(NEXT) | instid1(VALU_DEP_3)
	v_dual_add_f32 v24, v24, v27 :: v_dual_fmamk_f32 v27, v50, 0xbf3f9e67, v25
	v_dual_add_f32 v31, v31, v33 :: v_dual_add_f32 v26, v26, v32
	v_fmamk_f32 v32, v4, 0xbf29c268, v49
	v_mul_f32_e32 v33, 0x3eedf032, v47
	s_delay_alu instid0(VALU_DEP_4) | instskip(SKIP_1) | instid1(VALU_DEP_3)
	v_add_f32_e32 v27, v27, v29
	v_fmac_f32_e32 v49, 0x3f29c268, v4
	v_dual_add_f32 v29, v32, v34 :: v_dual_fmamk_f32 v32, v50, 0x3f62ad3f, v33
	v_mul_f32_e32 v34, 0x3f62ad3f, v5
	v_fma_f32 v33, 0x3f62ad3f, v50, -v33
	s_delay_alu instid0(VALU_DEP_3) | instskip(NEXT) | instid1(VALU_DEP_3)
	v_add_f32_e32 v32, v32, v37
	v_fmamk_f32 v37, v4, 0xbeedf032, v34
	v_fmac_f32_e32 v34, 0x3eedf032, v4
	s_delay_alu instid0(VALU_DEP_4) | instskip(NEXT) | instid1(VALU_DEP_3)
	v_add_f32_e32 v33, v33, v36
	v_add_f32_e32 v37, v37, v46
	s_delay_alu instid0(VALU_DEP_3) | instskip(SKIP_2) | instid1(VALU_DEP_3)
	v_dual_add_f32 v15, v34, v15 :: v_dual_fmamk_f32 v34, v4, 0x3f7e222b, v51
	v_dual_mul_f32 v36, 0x3e750f2a, v47 :: v_dual_add_f32 v45, v54, v45
	v_mul_f32_e32 v46, 0xbf788fa5, v5
	v_add_f32_e32 v34, v34, v38
	s_delay_alu instid0(VALU_DEP_3) | instskip(SKIP_1) | instid1(VALU_DEP_2)
	v_fmamk_f32 v38, v50, 0xbf788fa5, v36
	v_fma_f32 v36, 0xbf788fa5, v50, -v36
	v_dual_mul_f32 v5, 0x3f116cb1, v5 :: v_dual_add_f32 v38, v38, v42
	v_sub_f32_e32 v42, v7, v9
	v_fma_f32 v25, 0xbf3f9e67, v50, -v25
	v_add_f32_e32 v7, v9, v7
	s_delay_alu instid0(VALU_DEP_2) | instskip(SKIP_3) | instid1(VALU_DEP_2)
	v_dual_add_f32 v36, v36, v43 :: v_dual_add_f32 v25, v25, v28
	v_add_f32_e32 v28, v49, v30
	v_mul_f32_e32 v30, 0xbf7e222b, v47
	v_mul_f32_e32 v47, 0x3f52af12, v47
	v_fmamk_f32 v49, v50, 0x3df6dbef, v30
	v_fma_f32 v30, 0x3df6dbef, v50, -v30
	s_delay_alu instid0(VALU_DEP_1) | instskip(SKIP_1) | instid1(VALU_DEP_1)
	v_dual_add_f32 v30, v30, v39 :: v_dual_fmamk_f32 v39, v4, 0xbe750f2a, v46
	v_fmac_f32_e32 v46, 0x3e750f2a, v4
	v_dual_add_f32 v43, v46, v48 :: v_dual_add_f32 v46, v8, v6
	s_delay_alu instid0(VALU_DEP_3) | instskip(SKIP_1) | instid1(VALU_DEP_1)
	v_add_f32_e32 v39, v39, v41
	v_fmamk_f32 v41, v50, 0x3f116cb1, v47
	v_dual_mul_f32 v48, 0xbf29c268, v42 :: v_dual_add_f32 v41, v41, v44
	v_fmamk_f32 v44, v4, 0xbf52af12, v5
	v_fmac_f32_e32 v5, 0x3f52af12, v4
	s_delay_alu instid0(VALU_DEP_2)
	v_add_f32_e32 v35, v44, v35
	v_mul_f32_e32 v44, 0x3df6dbef, v7
	v_fmac_f32_e32 v51, 0xbf7e222b, v4
	v_sub_f32_e32 v4, v6, v8
	v_fmamk_f32 v6, v46, 0xbf3f9e67, v48
	v_mul_f32_e32 v8, 0xbf3f9e67, v7
	s_delay_alu instid0(VALU_DEP_2) | instskip(NEXT) | instid1(VALU_DEP_2)
	v_add_f32_e32 v6, v6, v10
	v_fmamk_f32 v10, v4, 0x3f29c268, v8
	v_dual_fmac_f32 v8, 0xbf29c268, v4 :: v_dual_add_f32 v17, v49, v17
	s_delay_alu instid0(VALU_DEP_2) | instskip(NEXT) | instid1(VALU_DEP_2)
	v_add_f32_e32 v10, v10, v24
	v_add_f32_e32 v8, v8, v26
	v_dual_fmamk_f32 v26, v4, 0xbf7e222b, v44 :: v_dual_add_f32 v45, v51, v45
	v_fmac_f32_e32 v44, 0x3f7e222b, v4
	s_delay_alu instid0(VALU_DEP_2) | instskip(NEXT) | instid1(VALU_DEP_2)
	v_dual_add_f32 v26, v26, v29 :: v_dual_mul_f32 v29, 0x3f116cb1, v7
	v_add_f32_e32 v28, v44, v28
	v_fma_f32 v9, 0x3f116cb1, v50, -v47
	v_mul_f32_e32 v47, 0xbf788fa5, v7
	s_delay_alu instid0(VALU_DEP_2) | instskip(SKIP_1) | instid1(VALU_DEP_1)
	v_add_f32_e32 v9, v9, v11
	v_mul_f32_e32 v11, 0x3f7e222b, v42
	v_fmamk_f32 v24, v46, 0x3df6dbef, v11
	v_fma_f32 v11, 0x3df6dbef, v46, -v11
	s_delay_alu instid0(VALU_DEP_2) | instskip(NEXT) | instid1(VALU_DEP_2)
	v_add_f32_e32 v27, v24, v27
	v_add_f32_e32 v11, v11, v25
	v_mul_f32_e32 v25, 0x3e750f2a, v42
	s_delay_alu instid0(VALU_DEP_1) | instskip(SKIP_1) | instid1(VALU_DEP_1)
	v_fmamk_f32 v44, v46, 0xbf788fa5, v25
	v_fma_f32 v25, 0xbf788fa5, v46, -v25
	v_add_f32_e32 v30, v25, v30
	v_add_f32_e32 v5, v5, v22
	v_fma_f32 v22, 0xbf3f9e67, v46, -v48
	s_delay_alu instid0(VALU_DEP_1) | instskip(NEXT) | instid1(VALU_DEP_1)
	v_dual_add_f32 v22, v22, v31 :: v_dual_mul_f32 v31, 0xbf52af12, v42
	v_fmamk_f32 v24, v46, 0x3f116cb1, v31
	v_fma_f32 v31, 0x3f116cb1, v46, -v31
	s_delay_alu instid0(VALU_DEP_2) | instskip(NEXT) | instid1(VALU_DEP_2)
	v_add_f32_e32 v32, v24, v32
	v_dual_fmamk_f32 v24, v4, 0x3f52af12, v29 :: v_dual_add_f32 v31, v31, v33
	v_fmac_f32_e32 v29, 0xbf52af12, v4
	s_delay_alu instid0(VALU_DEP_2) | instskip(SKIP_2) | instid1(VALU_DEP_2)
	v_add_f32_e32 v37, v24, v37
	v_fmamk_f32 v24, v4, 0xbe750f2a, v47
	v_mul_f32_e32 v33, 0x3f62ad3f, v7
	v_dual_fmac_f32 v47, 0x3e750f2a, v4 :: v_dual_add_f32 v34, v24, v34
	s_delay_alu instid0(VALU_DEP_2) | instskip(SKIP_1) | instid1(VALU_DEP_1)
	v_fmamk_f32 v25, v4, 0xbeedf032, v33
	v_fmac_f32_e32 v33, 0x3eedf032, v4
	v_add_f32_e32 v33, v33, v43
	v_add_f32_e32 v43, v2, v0
	;; [unrolled: 1-line block ×6, first 2 shown]
	v_mul_f32_e32 v29, 0x3eedf032, v42
	v_mul_f32_e32 v42, 0xbf6f5d39, v42
	s_delay_alu instid0(VALU_DEP_2) | instskip(NEXT) | instid1(VALU_DEP_1)
	v_fmamk_f32 v24, v46, 0x3f62ad3f, v29
	v_add_f32_e32 v38, v24, v38
	v_fma_f32 v24, 0x3f62ad3f, v46, -v29
	s_delay_alu instid0(VALU_DEP_1) | instskip(NEXT) | instid1(VALU_DEP_1)
	v_dual_add_f32 v36, v24, v36 :: v_dual_mul_f32 v7, 0xbeb58ec6, v7
	v_fmamk_f32 v24, v4, 0x3f6f5d39, v7
	v_fmac_f32_e32 v7, 0xbf6f5d39, v4
	s_delay_alu instid0(VALU_DEP_1)
	v_add_f32_e32 v47, v7, v5
	v_mul_f32_e32 v5, 0x3f62ad3f, v45
	v_add_f32_e32 v29, v25, v39
	v_fmamk_f32 v25, v46, 0xbeb58ec6, v42
	v_sub_f32_e32 v39, v1, v3
	v_fma_f32 v1, 0xbeb58ec6, v46, -v42
	v_sub_f32_e32 v42, v0, v2
	v_mul_f32_e32 v2, 0xbf788fa5, v45
	v_add_f32_e32 v41, v25, v41
	s_delay_alu instid0(VALU_DEP_4) | instskip(SKIP_1) | instid1(VALU_DEP_4)
	v_dual_mul_f32 v7, 0xbf29c268, v39 :: v_dual_add_f32 v46, v1, v9
	v_mul_f32_e32 v25, 0xbe750f2a, v39
	v_fmamk_f32 v1, v42, 0x3e750f2a, v2
	v_dual_fmac_f32 v2, 0xbe750f2a, v42 :: v_dual_add_f32 v35, v24, v35
	v_mul_f32_e32 v9, 0xbf3f9e67, v45
	s_delay_alu instid0(VALU_DEP_4) | instskip(SKIP_1) | instid1(VALU_DEP_4)
	v_fmamk_f32 v0, v43, 0xbf788fa5, v25
	v_fma_f32 v4, 0xbf788fa5, v43, -v25
	v_dual_add_f32 v25, v2, v8 :: v_dual_fmamk_f32 v8, v43, 0xbf3f9e67, v7
	s_delay_alu instid0(VALU_DEP_3) | instskip(NEXT) | instid1(VALU_DEP_3)
	v_dual_mul_f32 v3, 0x3eedf032, v39 :: v_dual_add_f32 v0, v0, v6
	v_add_f32_e32 v24, v4, v22
	v_dual_fmamk_f32 v4, v42, 0xbeedf032, v5 :: v_dual_add_f32 v1, v1, v10
	s_delay_alu instid0(VALU_DEP_3) | instskip(SKIP_1) | instid1(VALU_DEP_2)
	v_fmamk_f32 v6, v43, 0x3f62ad3f, v3
	v_fma_f32 v10, 0xbf3f9e67, v43, -v7
	v_dual_fmac_f32 v5, 0x3eedf032, v42 :: v_dual_add_f32 v2, v6, v27
	v_fma_f32 v6, 0x3f62ad3f, v43, -v3
	v_add_f32_e32 v3, v4, v26
	s_delay_alu instid0(VALU_DEP_2) | instskip(SKIP_3) | instid1(VALU_DEP_2)
	v_dual_add_f32 v5, v5, v28 :: v_dual_add_f32 v4, v6, v11
	v_dual_mul_f32 v11, 0x3f52af12, v39 :: v_dual_add_f32 v6, v8, v32
	v_fmamk_f32 v8, v42, 0x3f29c268, v9
	v_fmac_f32_e32 v9, 0xbf29c268, v42
	v_dual_fmamk_f32 v22, v43, 0x3f116cb1, v11 :: v_dual_add_f32 v7, v8, v37
	v_dual_add_f32 v8, v10, v31 :: v_dual_mul_f32 v31, 0xbeb58ec6, v45
	s_delay_alu instid0(VALU_DEP_2) | instskip(SKIP_2) | instid1(VALU_DEP_2)
	v_add_f32_e32 v10, v22, v17
	v_fma_f32 v22, 0x3f116cb1, v43, -v11
	v_add_f32_e32 v9, v9, v15
	v_dual_mul_f32 v17, 0xbf6f5d39, v39 :: v_dual_add_f32 v26, v22, v30
	v_fmamk_f32 v22, v42, 0x3f6f5d39, v31
	v_mul_f32_e32 v27, 0x3f116cb1, v45
	v_mul_f32_e32 v37, 0x3df6dbef, v45
	v_fmac_f32_e32 v31, 0xbf6f5d39, v42
	s_delay_alu instid0(VALU_DEP_4) | instskip(NEXT) | instid1(VALU_DEP_4)
	v_add_f32_e32 v29, v22, v29
	v_fmamk_f32 v15, v42, 0xbf52af12, v27
	s_delay_alu instid0(VALU_DEP_4)
	v_fmamk_f32 v22, v42, 0xbf7e222b, v37
	v_fmac_f32_e32 v37, 0x3f7e222b, v42
	v_fmac_f32_e32 v27, 0x3f52af12, v42
	v_add_f32_e32 v31, v31, v33
	v_add_f32_e32 v11, v15, v34
	v_fmamk_f32 v15, v43, 0xbeb58ec6, v17
	v_fma_f32 v17, 0xbeb58ec6, v43, -v17
	v_add_f32_e32 v33, v22, v35
	v_add_f32_e32 v35, v37, v47
	;; [unrolled: 1-line block ×3, first 2 shown]
	v_dual_add_f32 v28, v15, v38 :: v_dual_mul_f32 v15, 0x3f7e222b, v39
	v_add_f32_e32 v30, v17, v36
	v_lshl_add_u32 v42, v23, 3, 0
                                        ; implicit-def: $vgpr37
                                        ; implicit-def: $vgpr39
	s_delay_alu instid0(VALU_DEP_3) | instskip(NEXT) | instid1(VALU_DEP_1)
	v_fmamk_f32 v17, v43, 0x3df6dbef, v15
	v_add_f32_e32 v32, v17, v41
	v_fma_f32 v15, 0x3df6dbef, v43, -v15
	v_lshl_add_u32 v43, v21, 3, 0
	v_lshl_add_u32 v41, v20, 3, 0
	s_delay_alu instid0(VALU_DEP_3)
	v_add_f32_e32 v34, v15, v46
	v_mad_u32_u24 v15, 0x60, v16, v40
	ds_store_2addr_b64 v15, v[12:13], v[0:1] offset1:1
	ds_store_2addr_b64 v15, v[2:3], v[6:7] offset0:2 offset1:3
	ds_store_2addr_b64 v15, v[10:11], v[28:29] offset0:4 offset1:5
	;; [unrolled: 1-line block ×5, first 2 shown]
	ds_store_b64 v15, v[24:25] offset:96
	v_add_nc_u32_e32 v4, 0x2e00, v40
	v_add_nc_u32_e32 v0, 0xe00, v40
	;; [unrolled: 1-line block ×3, first 2 shown]
	global_wb scope:SCOPE_SE
	s_wait_dscnt 0x0
	s_barrier_signal -1
	s_barrier_wait -1
	global_inv scope:SCOPE_SE
	ds_load_2addr_b64 v[8:11], v0 offset0:59 offset1:215
	ds_load_2addr_b64 v[0:3], v1 offset0:51 offset1:246
	;; [unrolled: 1-line block ×3, first 2 shown]
	ds_load_b64 v[28:29], v43
	ds_load_2addr_b64 v[12:15], v14 offset0:18 offset1:174
	ds_load_b64 v[32:33], v40 offset:14664
	ds_load_b64 v[30:31], v40
	ds_load_b64 v[26:27], v42
                                        ; implicit-def: $vgpr35
	s_and_saveexec_b32 s1, s0
	s_cbranch_execz .LBB0_15
; %bb.14:
	ds_load_b64 v[24:25], v41
	ds_load_b64 v[34:35], v40 offset:7800
	ds_load_b64 v[36:37], v40 offset:11856
	;; [unrolled: 1-line block ×3, first 2 shown]
.LBB0_15:
	s_wait_alu 0xfffe
	s_or_b32 exec_lo, exec_lo, s1
	v_and_b32_e32 v17, 0xff, v16
	v_and_b32_e32 v22, 0xffff, v21
	;; [unrolled: 1-line block ×4, first 2 shown]
	s_delay_alu instid0(VALU_DEP_4) | instskip(NEXT) | instid1(VALU_DEP_4)
	v_mul_lo_u16 v17, 0x4f, v17
	v_mul_u32_u24_e32 v22, 0x4ec5, v22
	s_delay_alu instid0(VALU_DEP_4) | instskip(NEXT) | instid1(VALU_DEP_3)
	v_mul_u32_u24_e32 v44, 0x4ec5, v44
	v_lshrrev_b16 v72, 10, v17
	s_delay_alu instid0(VALU_DEP_3) | instskip(NEXT) | instid1(VALU_DEP_3)
	v_lshrrev_b32_e32 v73, 18, v22
	v_lshrrev_b32_e32 v74, 18, v44
	s_delay_alu instid0(VALU_DEP_3) | instskip(NEXT) | instid1(VALU_DEP_3)
	v_mul_lo_u16 v45, v72, 13
	v_mul_lo_u16 v48, v73, 13
	v_mul_u32_u24_e32 v73, 0x1a0, v73
	s_delay_alu instid0(VALU_DEP_3) | instskip(SKIP_1) | instid1(VALU_DEP_2)
	v_sub_nc_u16 v47, v16, v45
	v_mul_u32_u24_e32 v45, 0x4ec5, v46
	v_and_b32_e32 v75, 0xff, v47
	v_sub_nc_u16 v47, v21, v48
	v_mul_lo_u16 v48, v74, 13
	s_delay_alu instid0(VALU_DEP_4)
	v_lshrrev_b32_e32 v46, 18, v45
	v_mul_u32_u24_e32 v74, 0x1a0, v74
	v_mul_u32_u24_e32 v49, 3, v75
	v_and_b32_e32 v76, 0xffff, v47
	v_sub_nc_u16 v47, v23, v48
	v_mul_lo_u16 v48, v46, 13
	s_delay_alu instid0(VALU_DEP_4) | instskip(NEXT) | instid1(VALU_DEP_4)
	v_lshlrev_b32_e32 v52, 3, v49
	v_mul_u32_u24_e32 v53, 3, v76
	s_delay_alu instid0(VALU_DEP_4) | instskip(NEXT) | instid1(VALU_DEP_4)
	v_and_b32_e32 v77, 0xffff, v47
	v_sub_nc_u16 v47, v20, v48
	global_load_b128 v[48:51], v52, s[4:5]
	v_lshlrev_b32_e32 v56, 3, v53
	v_mul_u32_u24_e32 v57, 3, v77
	s_clause 0x1
	global_load_b64 v[64:65], v52, s[4:5] offset:16
	global_load_b128 v[52:55], v56, s[4:5]
	v_and_b32_e32 v72, 0xffff, v72
	v_lshlrev_b32_e32 v60, 3, v57
	s_wait_loadcnt_dscnt 0x7
	v_dual_mul_f32 v78, v53, v11 :: v_dual_lshlrev_b32 v77, 3, v77
	v_mul_f32_e32 v53, v53, v10
	s_wait_dscnt 0x3
	v_mul_f32_e32 v79, v55, v13
	v_mul_f32_e32 v55, v55, v12
	s_clause 0x1
	global_load_b64 v[66:67], v56, s[4:5] offset:16
	global_load_b128 v[56:59], v60, s[4:5]
	v_dual_fmac_f32 v78, v52, v10 :: v_dual_and_b32 v47, 0xffff, v47
	v_add3_u32 v74, 0, v74, v77
	v_dual_mul_f32 v77, v65, v5 :: v_dual_lshlrev_b32 v76, 3, v76
	s_delay_alu instid0(VALU_DEP_3) | instskip(SKIP_1) | instid1(VALU_DEP_2)
	v_mul_u32_u24_e32 v61, 3, v47
	v_mul_u32_u24_e32 v72, 0x1a0, v72
	v_dual_mul_f32 v65, v65, v4 :: v_dual_lshlrev_b32 v70, 3, v61
	s_wait_loadcnt 0x1
	v_mul_f32_e32 v80, v67, v7
	v_mul_f32_e32 v67, v67, v6
	s_clause 0x2
	global_load_b64 v[68:69], v60, s[4:5] offset:16
	global_load_b128 v[60:63], v70, s[4:5]
	global_load_b64 v[70:71], v70, s[4:5] offset:16
	s_wait_loadcnt 0x3
	v_mul_f32_e32 v81, v57, v1
	v_mul_f32_e32 v57, v57, v0
	v_add3_u32 v73, 0, v73, v76
	v_mul_f32_e32 v76, v51, v3
	v_mul_f32_e32 v51, v51, v2
	;; [unrolled: 1-line block ×3, first 2 shown]
	global_wb scope:SCOPE_SE
	s_wait_loadcnt_dscnt 0x0
	s_barrier_signal -1
	v_fmac_f32_e32 v76, v50, v2
	v_fma_f32 v2, v50, v3, -v51
	v_fma_f32 v3, v64, v5, -v65
	;; [unrolled: 1-line block ×3, first 2 shown]
	s_barrier_wait -1
	global_inv scope:SCOPE_SE
	v_fmac_f32_e32 v80, v66, v6
	v_fma_f32 v6, v66, v7, -v67
	v_mul_f32_e32 v83, v33, v69
	v_dual_mul_f32 v69, v32, v69 :: v_dual_mul_f32 v86, v39, v71
	v_dual_mul_f32 v84, v35, v61 :: v_dual_lshlrev_b32 v75, 3, v75
	v_mul_f32_e32 v59, v59, v14
	v_dual_mul_f32 v85, v37, v63 :: v_dual_fmac_f32 v82, v58, v14
	s_delay_alu instid0(VALU_DEP_4) | instskip(NEXT) | instid1(VALU_DEP_4)
	v_dual_mul_f32 v63, v36, v63 :: v_dual_fmac_f32 v86, v38, v70
	v_add3_u32 v72, 0, v72, v75
	v_mul_f32_e32 v75, v49, v9
	v_mul_f32_e32 v49, v49, v8
	v_dual_fmac_f32 v84, v34, v60 :: v_dual_fmac_f32 v85, v36, v62
	v_fma_f32 v10, v37, v62, -v63
	v_fmac_f32_e32 v81, v56, v0
	v_fma_f32 v0, v56, v1, -v57
	v_fma_f32 v1, v58, v15, -v59
	v_fmac_f32_e32 v77, v64, v4
	v_fma_f32 v4, v52, v11, -v53
	v_fmac_f32_e32 v79, v54, v12
	v_sub_f32_e32 v12, v30, v76
	v_fmac_f32_e32 v75, v48, v8
	v_fma_f32 v8, v48, v9, -v49
	v_mul_f32_e32 v61, v34, v61
	v_fma_f32 v7, v33, v68, -v69
	v_sub_f32_e32 v6, v4, v6
	v_sub_f32_e32 v34, v27, v1
	v_fma_f32 v37, v30, 2.0, -v12
	v_sub_f32_e32 v15, v28, v79
	v_dual_fmac_f32 v83, v32, v68 :: v_dual_sub_f32 v32, v29, v5
	v_dual_mul_f32 v71, v38, v71 :: v_dual_sub_f32 v14, v75, v77
	v_sub_f32_e32 v5, v78, v80
	v_sub_f32_e32 v33, v26, v82
	;; [unrolled: 1-line block ×3, first 2 shown]
	s_delay_alu instid0(VALU_DEP_4)
	v_fma_f32 v11, v39, v70, -v71
	v_sub_f32_e32 v10, v84, v86
	v_fma_f32 v39, v28, 2.0, -v15
	v_sub_f32_e32 v7, v0, v7
	v_dual_sub_f32 v13, v31, v2 :: v_dual_sub_f32 v2, v8, v3
	v_fma_f32 v9, v35, v60, -v61
	v_sub_f32_e32 v35, v24, v85
	v_fma_f32 v48, v29, 2.0, -v32
	v_fma_f32 v28, v4, 2.0, -v6
	v_dual_add_f32 v4, v15, v6 :: v_dual_sub_f32 v1, v81, v83
	v_fma_f32 v29, v84, 2.0, -v10
	v_sub_f32_e32 v11, v9, v11
	v_fma_f32 v30, v75, 2.0, -v14
	v_fma_f32 v50, v27, 2.0, -v34
	;; [unrolled: 1-line block ×4, first 2 shown]
	v_add_f32_e32 v0, v35, v11
	v_fma_f32 v49, v26, 2.0, -v33
	v_add_f32_e32 v6, v33, v7
	v_fma_f32 v38, v31, 2.0, -v13
	v_fma_f32 v31, v8, 2.0, -v2
	v_add_f32_e32 v2, v12, v2
	v_fma_f32 v26, v81, 2.0, -v1
	v_sub_f32_e32 v8, v37, v30
	v_sub_f32_e32 v3, v13, v14
	v_fma_f32 v14, v78, 2.0, -v5
	s_delay_alu instid0(VALU_DEP_4)
	v_dual_sub_f32 v7, v34, v1 :: v_dual_sub_f32 v30, v49, v26
	v_fma_f32 v24, v24, 2.0, -v35
	v_sub_f32_e32 v1, v36, v10
	v_sub_f32_e32 v5, v32, v5
	v_fma_f32 v10, v12, 2.0, -v2
	v_sub_f32_e32 v12, v39, v14
	v_sub_f32_e32 v26, v24, v29
	v_fma_f32 v51, v9, 2.0, -v11
	v_sub_f32_e32 v9, v38, v31
	v_sub_f32_e32 v31, v50, v27
	v_fma_f32 v11, v13, 2.0, -v3
	v_sub_f32_e32 v13, v48, v28
	v_sub_f32_e32 v27, v25, v51
	v_fma_f32 v28, v35, 2.0, -v0
	v_fma_f32 v29, v36, 2.0, -v1
	;; [unrolled: 1-line block ×14, first 2 shown]
	ds_store_2addr_b64 v72, v[8:9], v[2:3] offset0:26 offset1:39
	ds_store_2addr_b64 v72, v[34:35], v[10:11] offset1:13
	ds_store_2addr_b64 v73, v[36:37], v[14:15] offset1:13
	ds_store_2addr_b64 v73, v[12:13], v[4:5] offset0:26 offset1:39
	ds_store_2addr_b64 v74, v[38:39], v[32:33] offset1:13
	ds_store_2addr_b64 v74, v[30:31], v[6:7] offset0:26 offset1:39
	s_and_saveexec_b32 s1, s0
	s_cbranch_execz .LBB0_17
; %bb.16:
	v_mul_lo_u16 v2, v46, 52
	v_lshlrev_b32_e32 v3, 3, v47
	s_delay_alu instid0(VALU_DEP_2) | instskip(NEXT) | instid1(VALU_DEP_1)
	v_and_b32_e32 v2, 0xffff, v2
	v_lshlrev_b32_e32 v2, 3, v2
	s_delay_alu instid0(VALU_DEP_1)
	v_add3_u32 v2, 0, v3, v2
	ds_store_2addr_b64 v2, v[24:25], v[28:29] offset1:13
	ds_store_2addr_b64 v2, v[26:27], v[0:1] offset0:26 offset1:39
.LBB0_17:
	s_wait_alu 0xfffe
	s_or_b32 exec_lo, exec_lo, s1
	v_add_nc_u32_e32 v0, 0x1400, v40
	v_add_nc_u32_e32 v4, 0x2800, v40
	;; [unrolled: 1-line block ×4, first 2 shown]
	global_wb scope:SCOPE_SE
	s_wait_dscnt 0x0
	s_barrier_signal -1
	s_barrier_wait -1
	global_inv scope:SCOPE_SE
	ds_load_2addr_b64 v[0:3], v0 offset0:36 offset1:192
	ds_load_2addr_b64 v[12:15], v4 offset0:72 offset1:228
	ds_load_b64 v[34:35], v43
	ds_load_b64 v[32:33], v42
	ds_load_2addr_b64 v[8:11], v5 offset0:92 offset1:248
	ds_load_2addr_b64 v[4:7], v6 offset1:156
	ds_load_b64 v[36:37], v40
	ds_load_b64 v[30:31], v41
	v_cmp_gt_u32_e64 s0, 52, v16
	s_delay_alu instid0(VALU_DEP_1)
	s_and_saveexec_b32 s1, s0
	s_cbranch_execz .LBB0_19
; %bb.18:
	ds_load_b64 v[24:25], v40 offset:4992
	ds_load_b64 v[28:29], v40 offset:10400
	;; [unrolled: 1-line block ×3, first 2 shown]
.LBB0_19:
	s_wait_alu 0xfffe
	s_or_b32 exec_lo, exec_lo, s1
	v_lshrrev_b16 v17, 12, v17
	v_lshrrev_b32_e32 v22, 20, v22
	v_lshrrev_b32_e32 v39, 20, v44
	;; [unrolled: 1-line block ×3, first 2 shown]
	s_delay_alu instid0(VALU_DEP_4) | instskip(NEXT) | instid1(VALU_DEP_4)
	v_mul_lo_u16 v38, v17, 52
	v_mul_lo_u16 v44, v22, 52
	s_delay_alu instid0(VALU_DEP_4) | instskip(NEXT) | instid1(VALU_DEP_4)
	v_mul_lo_u16 v45, v39, 52
	v_mul_lo_u16 v46, v60, 52
	v_mul_u32_u24_e32 v39, 0x4e0, v39
	v_sub_nc_u16 v38, v16, v38
	v_sub_nc_u16 v44, v21, v44
	;; [unrolled: 1-line block ×4, first 2 shown]
	v_mul_u32_u24_e32 v60, 0x4e0, v60
	v_and_b32_e32 v38, 0xff, v38
	v_and_b32_e32 v61, 0xffff, v44
	;; [unrolled: 1-line block ×4, first 2 shown]
	v_mul_u32_u24_e32 v22, 0x4e0, v22
	v_lshlrev_b32_e32 v44, 4, v38
	v_lshlrev_b32_e32 v49, 4, v61
	;; [unrolled: 1-line block ×3, first 2 shown]
	s_clause 0x1
	global_load_b128 v[44:47], v44, s[4:5] offset:312
	global_load_b128 v[48:51], v49, s[4:5] offset:312
	v_and_b32_e32 v17, 0xffff, v17
	v_lshlrev_b32_e32 v52, 4, v62
	v_lshlrev_b32_e32 v62, 3, v62
	s_delay_alu instid0(VALU_DEP_3) | instskip(NEXT) | instid1(VALU_DEP_1)
	v_mul_u32_u24_e32 v17, 0x4e0, v17
	v_add3_u32 v17, 0, v17, v38
	s_delay_alu instid0(VALU_DEP_3) | instskip(SKIP_3) | instid1(VALU_DEP_2)
	v_add3_u32 v38, 0, v39, v62
	s_wait_loadcnt_dscnt 0x7
	v_mul_f32_e32 v62, v49, v3
	v_dual_mul_f32 v49, v49, v2 :: v_dual_lshlrev_b32 v56, 4, v63
	v_dual_fmac_f32 v62, v48, v2 :: v_dual_lshlrev_b32 v63, 3, v63
	s_delay_alu instid0(VALU_DEP_2) | instskip(NEXT) | instid1(VALU_DEP_2)
	v_fma_f32 v2, v48, v3, -v49
	v_add3_u32 v39, 0, v60, v63
	s_wait_dscnt 0x6
	v_mul_f32_e32 v63, v51, v15
	s_clause 0x1
	global_load_b128 v[52:55], v52, s[4:5] offset:312
	global_load_b128 v[56:59], v56, s[4:5] offset:312
	v_mul_f32_e32 v60, v45, v1
	v_lshlrev_b32_e32 v61, 3, v61
	v_mul_f32_e32 v45, v45, v0
	global_wb scope:SCOPE_SE
	s_wait_loadcnt_dscnt 0x0
	s_barrier_signal -1
	v_fmac_f32_e32 v60, v44, v0
	v_add3_u32 v22, 0, v22, v61
	v_mul_f32_e32 v61, v47, v13
	v_mul_f32_e32 v47, v47, v12
	v_fma_f32 v0, v44, v1, -v45
	s_barrier_wait -1
	global_inv scope:SCOPE_SE
	v_fma_f32 v1, v46, v13, -v47
	v_mul_f32_e32 v64, v53, v9
	v_mul_f32_e32 v53, v53, v8
	v_dual_mul_f32 v65, v55, v5 :: v_dual_mul_f32 v66, v57, v11
	v_mul_f32_e32 v55, v55, v4
	s_delay_alu instid0(VALU_DEP_4)
	v_dual_mul_f32 v51, v51, v14 :: v_dual_fmac_f32 v64, v52, v8
	v_mul_f32_e32 v57, v57, v10
	v_mul_f32_e32 v67, v7, v59
	v_fmac_f32_e32 v63, v50, v14
	v_fma_f32 v8, v52, v9, -v53
	v_add_f32_e32 v48, v32, v64
	v_fmac_f32_e32 v66, v56, v10
	v_fma_f32 v5, v54, v5, -v55
	v_fmac_f32_e32 v61, v46, v12
	v_dual_mul_f32 v59, v6, v59 :: v_dual_add_f32 v12, v0, v1
	v_fma_f32 v3, v50, v15, -v51
	v_dual_fmac_f32 v65, v54, v4 :: v_dual_sub_f32 v10, v0, v1
	v_sub_f32_e32 v50, v8, v5
	v_dual_add_f32 v9, v60, v61 :: v_dual_add_f32 v14, v34, v62
	v_dual_add_f32 v51, v33, v8 :: v_dual_add_f32 v8, v8, v5
	s_delay_alu instid0(VALU_DEP_4)
	v_dual_fmac_f32 v67, v6, v58 :: v_dual_sub_f32 v52, v64, v65
	v_add_f32_e32 v6, v36, v60
	v_fma_f32 v4, v56, v11, -v57
	v_add_f32_e32 v15, v62, v63
	v_fma_f32 v7, v7, v58, -v59
	v_dual_add_f32 v11, v37, v0 :: v_dual_sub_f32 v44, v2, v3
	v_dual_add_f32 v45, v35, v2 :: v_dual_add_f32 v54, v66, v67
	v_add_f32_e32 v56, v31, v4
	v_fma_f32 v36, -0.5, v9, v36
	v_fma_f32 v34, -0.5, v15, v34
	v_dual_sub_f32 v13, v60, v61 :: v_dual_add_f32 v46, v2, v3
	v_dual_add_f32 v49, v64, v65 :: v_dual_sub_f32 v58, v66, v67
	v_add_f32_e32 v53, v30, v66
	v_sub_f32_e32 v55, v4, v7
	v_add_f32_e32 v57, v4, v7
	v_fma_f32 v30, -0.5, v54, v30
	v_dual_fmac_f32 v33, -0.5, v8 :: v_dual_fmamk_f32 v8, v10, 0xbf5db3d7, v36
	v_fmac_f32_e32 v36, 0x3f5db3d7, v10
	v_dual_fmamk_f32 v10, v44, 0xbf5db3d7, v34 :: v_dual_fmac_f32 v37, -0.5, v12
	v_dual_sub_f32 v47, v62, v63 :: v_dual_add_f32 v4, v48, v65
	v_fma_f32 v32, -0.5, v49, v32
	v_dual_fmac_f32 v35, -0.5, v46 :: v_dual_add_f32 v0, v6, v61
	v_dual_add_f32 v1, v11, v1 :: v_dual_add_f32 v2, v14, v63
	v_dual_add_f32 v6, v53, v67 :: v_dual_fmac_f32 v31, -0.5, v57
	v_fmamk_f32 v9, v13, 0x3f5db3d7, v37
	v_fmac_f32_e32 v37, 0xbf5db3d7, v13
	v_dual_add_f32 v3, v45, v3 :: v_dual_fmac_f32 v34, 0x3f5db3d7, v44
	v_fmamk_f32 v12, v50, 0xbf5db3d7, v32
	v_fmamk_f32 v11, v47, 0x3f5db3d7, v35
	v_fmac_f32_e32 v35, 0xbf5db3d7, v47
	v_dual_add_f32 v5, v51, v5 :: v_dual_fmac_f32 v32, 0x3f5db3d7, v50
	v_fmamk_f32 v14, v55, 0xbf5db3d7, v30
	v_fmamk_f32 v13, v52, 0x3f5db3d7, v33
	v_add_f32_e32 v7, v56, v7
	v_fmac_f32_e32 v33, 0xbf5db3d7, v52
	v_dual_fmac_f32 v30, 0x3f5db3d7, v55 :: v_dual_fmamk_f32 v15, v58, 0x3f5db3d7, v31
	v_fmac_f32_e32 v31, 0xbf5db3d7, v58
	ds_store_2addr_b64 v17, v[0:1], v[8:9] offset1:52
	ds_store_b64 v17, v[36:37] offset:832
	ds_store_2addr_b64 v22, v[2:3], v[10:11] offset1:52
	ds_store_b64 v22, v[34:35] offset:832
	;; [unrolled: 2-line block ×4, first 2 shown]
	s_and_saveexec_b32 s1, s0
	s_cbranch_execz .LBB0_21
; %bb.20:
	v_add_nc_u32_e32 v0, 0x270, v16
	s_delay_alu instid0(VALU_DEP_1) | instskip(NEXT) | instid1(VALU_DEP_1)
	v_and_b32_e32 v1, 0xffff, v0
	v_mul_u32_u24_e32 v1, 0x4ec5, v1
	s_delay_alu instid0(VALU_DEP_1) | instskip(NEXT) | instid1(VALU_DEP_1)
	v_lshrrev_b32_e32 v1, 20, v1
	v_mul_lo_u16 v1, v1, 52
	s_delay_alu instid0(VALU_DEP_1) | instskip(NEXT) | instid1(VALU_DEP_1)
	v_sub_nc_u16 v0, v0, v1
	v_and_b32_e32 v4, 0xffff, v0
	s_delay_alu instid0(VALU_DEP_1)
	v_lshlrev_b32_e32 v0, 4, v4
	global_load_b128 v[0:3], v0, s[4:5] offset:312
	s_wait_loadcnt 0x0
	v_mul_f32_e32 v7, v27, v3
	v_dual_mul_f32 v5, v28, v1 :: v_dual_mul_f32 v6, v26, v3
	v_mul_f32_e32 v1, v29, v1
	s_delay_alu instid0(VALU_DEP_2) | instskip(NEXT) | instid1(VALU_DEP_3)
	v_fma_f32 v3, v29, v0, -v5
	v_fma_f32 v5, v27, v2, -v6
	s_delay_alu instid0(VALU_DEP_3) | instskip(SKIP_1) | instid1(VALU_DEP_3)
	v_fmac_f32_e32 v1, v28, v0
	v_lshl_add_u32 v6, v4, 3, 0
	v_dual_add_f32 v0, v3, v5 :: v_dual_fmac_f32 v7, v26, v2
	s_delay_alu instid0(VALU_DEP_3) | instskip(SKIP_1) | instid1(VALU_DEP_4)
	v_add_f32_e32 v4, v24, v1
	v_sub_f32_e32 v9, v3, v5
	v_dual_add_f32 v3, v25, v3 :: v_dual_add_nc_u32 v10, 0x3800, v6
	s_delay_alu instid0(VALU_DEP_4) | instskip(SKIP_2) | instid1(VALU_DEP_4)
	v_sub_f32_e32 v8, v1, v7
	v_add_f32_e32 v2, v1, v7
	v_fma_f32 v1, -0.5, v0, v25
	v_add_f32_e32 v3, v3, v5
	s_delay_alu instid0(VALU_DEP_3) | instskip(SKIP_1) | instid1(VALU_DEP_4)
	v_fma_f32 v0, -0.5, v2, v24
	v_add_f32_e32 v2, v4, v7
	v_fmamk_f32 v5, v8, 0xbf5db3d7, v1
	s_delay_alu instid0(VALU_DEP_3)
	v_dual_fmac_f32 v1, 0x3f5db3d7, v8 :: v_dual_fmamk_f32 v4, v9, 0x3f5db3d7, v0
	v_fmac_f32_e32 v0, 0xbf5db3d7, v9
	ds_store_2addr_b64 v10, v[2:3], v[0:1] offset0:80 offset1:132
	ds_store_b64 v6, v[4:5] offset:15808
.LBB0_21:
	s_wait_alu 0xfffe
	s_or_b32 exec_lo, exec_lo, s1
	v_mul_u32_u24_e32 v0, 12, v16
	global_wb scope:SCOPE_SE
	s_wait_dscnt 0x0
	s_barrier_signal -1
	s_barrier_wait -1
	global_inv scope:SCOPE_SE
	v_lshlrev_b32_e32 v0, 3, v0
	s_mov_b32 s1, exec_lo
	s_clause 0x5
	global_load_b128 v[24:27], v0, s[4:5] offset:1144
	global_load_b128 v[30:33], v0, s[4:5] offset:1160
	;; [unrolled: 1-line block ×6, first 2 shown]
	ds_load_b64 v[7:8], v43
	ds_load_b64 v[14:15], v42
	v_add_nc_u32_e32 v0, 0x1800, v40
	ds_load_b64 v[68:69], v41
	v_add_nc_u32_e32 v4, 0x1c00, v40
	s_wait_loadcnt_dscnt 0x501
	v_dual_mul_f32 v22, v27, v14 :: v_dual_add_nc_u32 v3, 0x2400, v40
	v_mul_f32_e32 v35, v27, v15
	ds_load_b64 v[70:71], v40 offset:4992
	ds_load_2addr_b32 v[72:73], v0 offset0:24 offset1:25
	s_wait_loadcnt_dscnt 0x402
	v_dual_mul_f32 v29, v31, v69 :: v_dual_add_nc_u32 v2, 0x3000, v40
	ds_load_2addr_b64 v[56:59], v4 offset0:40 offset1:196
	v_mul_f32_e32 v34, v25, v8
	v_dual_mul_f32 v17, v25, v7 :: v_dual_mul_f32 v28, v31, v68
	s_delay_alu instid0(VALU_DEP_1)
	v_fma_f32 v76, v24, v8, -v17
	s_wait_dscnt 0x2
	v_mul_f32_e32 v31, v33, v70
	v_mul_f32_e32 v27, v33, v71
	ds_load_2addr_b64 v[60:63], v3 offset0:96 offset1:252
	ds_load_b64 v[74:75], v40 offset:14976
	ds_load_2addr_b64 v[64:67], v2 offset0:24 offset1:180
	ds_load_b64 v[0:1], v40
	s_wait_loadcnt_dscnt 0x305
	v_mul_f32_e32 v25, v73, v37
	s_wait_loadcnt_dscnt 0x204
	v_dual_mul_f32 v33, v37, v72 :: v_dual_mul_f32 v6, v59, v45
	v_mul_f32_e32 v5, v57, v39
	v_mul_f32_e32 v39, v56, v39
	;; [unrolled: 1-line block ×3, first 2 shown]
	v_fmac_f32_e32 v27, v32, v70
	v_fma_f32 v37, v26, v15, -v22
	v_fmac_f32_e32 v6, v58, v44
	global_wb scope:SCOPE_SE
	s_wait_loadcnt_dscnt 0x0
	s_barrier_signal -1
	s_barrier_wait -1
	v_fmac_f32_e32 v34, v24, v7
	v_fma_f32 v7, v57, v38, -v39
	global_inv scope:SCOPE_SE
	v_mul_f32_e32 v9, v63, v49
	v_mul_f32_e32 v12, v75, v55
	;; [unrolled: 1-line block ×5, first 2 shown]
	s_delay_alu instid0(VALU_DEP_4)
	v_dual_mul_f32 v11, v67, v53 :: v_dual_fmac_f32 v12, v74, v54
	v_mul_f32_e32 v51, v64, v51
	v_dual_fmac_f32 v10, v64, v50 :: v_dual_fmac_f32 v9, v62, v48
	v_fmac_f32_e32 v29, v30, v68
	v_fma_f32 v30, v30, v69, -v28
	v_fma_f32 v28, v32, v71, -v31
	v_sub_f32_e32 v32, v34, v12
	v_fma_f32 v17, v65, v50, -v51
	v_mul_f32_e32 v55, v74, v55
	v_fma_f32 v8, v59, v44, -v45
	v_add_f32_e32 v44, v76, v1
	v_fma_f32 v24, v61, v46, -v47
	v_sub_f32_e32 v50, v30, v17
	v_fmac_f32_e32 v35, v26, v14
	v_mul_f32_e32 v53, v66, v53
	v_fma_f32 v14, v75, v54, -v55
	v_mul_f32_e32 v49, v62, v49
	v_fma_f32 v26, v73, v36, -v33
	v_fmac_f32_e32 v5, v56, v38
	v_fma_f32 v15, v67, v52, -v53
	v_dual_sub_f32 v54, v27, v9 :: v_dual_fmac_f32 v25, v36, v72
	v_add_f32_e32 v38, v29, v10
	v_sub_f32_e32 v36, v29, v10
	s_delay_alu instid0(VALU_DEP_4) | instskip(SKIP_3) | instid1(VALU_DEP_4)
	v_add_f32_e32 v47, v37, v15
	v_add_f32_e32 v45, v76, v14
	v_mul_f32_e32 v78, 0xbe750f2a, v50
	v_sub_f32_e32 v56, v26, v24
	v_dual_mul_f32 v68, 0x3f116cb1, v47 :: v_dual_fmac_f32 v13, v60, v46
	s_delay_alu instid0(VALU_DEP_4)
	v_dual_add_f32 v39, v34, v0 :: v_dual_mul_f32 v60, 0x3f116cb1, v45
	v_sub_f32_e32 v46, v76, v14
	v_fma_f32 v22, v63, v48, -v49
	v_dual_sub_f32 v48, v37, v15 :: v_dual_add_f32 v37, v44, v37
	v_dual_mul_f32 v44, 0x3f62ad3f, v45 :: v_dual_fmac_f32 v11, v66, v52
	v_dual_sub_f32 v58, v25, v13 :: v_dual_add_f32 v31, v34, v12
	v_mul_f32_e32 v62, 0x3df6dbef, v45
	v_add_f32_e32 v49, v30, v17
	v_add_f32_e32 v52, v27, v9
	v_dual_add_f32 v33, v35, v11 :: v_dual_mul_f32 v64, 0xbeb58ec6, v45
	v_sub_f32_e32 v34, v35, v11
	v_add_f32_e32 v35, v39, v35
	v_mul_f32_e32 v39, 0xbeedf032, v46
	v_mul_f32_e32 v59, 0xbf52af12, v46
	;; [unrolled: 1-line block ×3, first 2 shown]
	v_dual_mul_f32 v66, 0xbf3f9e67, v45 :: v_dual_sub_f32 v51, v28, v22
	v_dual_mul_f32 v70, 0xbeb58ec6, v47 :: v_dual_add_f32 v53, v28, v22
	v_dual_mul_f32 v72, 0xbf788fa5, v47 :: v_dual_add_f32 v57, v26, v24
	v_mul_f32_e32 v76, 0x3df6dbef, v47
	s_delay_alu instid0(VALU_DEP_4)
	v_dual_mul_f32 v61, 0xbf7e222b, v46 :: v_dual_mul_f32 v90, 0xbf7e222b, v51
	v_mul_f32_e32 v65, 0xbf29c268, v46
	v_mul_f32_e32 v46, 0xbe750f2a, v46
	v_dual_mul_f32 v45, 0xbf788fa5, v45 :: v_dual_add_f32 v30, v37, v30
	v_dual_add_f32 v55, v25, v13 :: v_dual_mul_f32 v74, 0xbf3f9e67, v47
	v_mul_f32_e32 v67, 0xbf52af12, v48
	v_mul_f32_e32 v69, 0xbf6f5d39, v48
	;; [unrolled: 1-line block ×3, first 2 shown]
	v_dual_mul_f32 v73, 0x3f29c268, v48 :: v_dual_mul_f32 v88, 0x3f29c268, v51
	v_dual_mul_f32 v75, 0x3f7e222b, v48 :: v_dual_fmamk_f32 v110, v32, 0x3f7e222b, v62
	v_mul_f32_e32 v48, 0x3eedf032, v48
	v_dual_mul_f32 v47, 0x3f62ad3f, v47 :: v_dual_mul_f32 v94, 0x3f62ad3f, v53
	v_dual_mul_f32 v77, 0xbf7e222b, v50 :: v_dual_fmac_f32 v62, 0xbf7e222b, v32
	v_dual_mul_f32 v79, 0x3f6f5d39, v50 :: v_dual_fmamk_f32 v112, v32, 0x3f6f5d39, v64
	v_dual_mul_f32 v80, 0x3eedf032, v50 :: v_dual_mul_f32 v89, 0x3eedf032, v51
	v_dual_mul_f32 v82, 0x3df6dbef, v49 :: v_dual_fmamk_f32 v109, v31, 0x3df6dbef, v61
	v_dual_mul_f32 v91, 0x3e750f2a, v51 :: v_dual_fmamk_f32 v116, v32, 0x3e750f2a, v45
	v_dual_mul_f32 v96, 0xbf788fa5, v53 :: v_dual_fmamk_f32 v115, v31, 0xbf788fa5, v46
	v_dual_add_f32 v29, v35, v29 :: v_dual_fmamk_f32 v114, v32, 0x3f29c268, v66
	v_dual_fmamk_f32 v37, v32, 0x3eedf032, v44 :: v_dual_add_f32 v110, v110, v1
	v_fmac_f32_e32 v44, 0xbeedf032, v32
	v_dual_mul_f32 v106, 0x3f62ad3f, v57 :: v_dual_fmamk_f32 v35, v31, 0x3f62ad3f, v39
	v_fma_f32 v39, 0x3f62ad3f, v31, -v39
	v_fmamk_f32 v108, v32, 0x3f52af12, v60
	v_fmac_f32_e32 v60, 0xbf52af12, v32
	v_dual_mul_f32 v86, 0x3f116cb1, v49 :: v_dual_fmamk_f32 v107, v31, 0x3f116cb1, v59
	v_mul_f32_e32 v81, 0xbf52af12, v50
	v_fma_f32 v59, 0x3f116cb1, v31, -v59
	v_fma_f32 v61, 0x3df6dbef, v31, -v61
	v_fmac_f32_e32 v64, 0xbf6f5d39, v32
	v_dual_mul_f32 v84, 0xbeb58ec6, v49 :: v_dual_fmamk_f32 v111, v31, 0xbeb58ec6, v63
	v_mul_f32_e32 v87, 0xbf6f5d39, v51
	v_mul_f32_e32 v51, 0x3f52af12, v51
	v_fma_f32 v63, 0xbeb58ec6, v31, -v63
	v_fmac_f32_e32 v66, 0xbf29c268, v32
	v_dual_mul_f32 v98, 0xbf3f9e67, v57 :: v_dual_fmamk_f32 v113, v31, 0xbf3f9e67, v65
	v_fma_f32 v65, 0xbf3f9e67, v31, -v65
	v_fma_f32 v31, 0xbf788fa5, v31, -v46
	v_mul_f32_e32 v83, 0xbf788fa5, v49
	v_dual_mul_f32 v50, 0xbf29c268, v50 :: v_dual_mul_f32 v97, 0xbf29c268, v56
	v_dual_mul_f32 v85, 0x3f62ad3f, v49 :: v_dual_fmamk_f32 v128, v38, 0x3f62ad3f, v80
	s_delay_alu instid0(VALU_DEP_2)
	v_dual_mul_f32 v49, 0xbf3f9e67, v49 :: v_dual_fmamk_f32 v130, v38, 0xbf3f9e67, v50
	v_dual_mul_f32 v93, 0xbf3f9e67, v53 :: v_dual_fmamk_f32 v136, v52, 0xbf3f9e67, v88
	v_mul_f32_e32 v95, 0x3df6dbef, v53
	v_mul_f32_e32 v99, 0x3f7e222b, v56
	v_dual_mul_f32 v100, 0x3df6dbef, v57 :: v_dual_fmamk_f32 v123, v33, 0x3df6dbef, v75
	v_dual_mul_f32 v101, 0xbf52af12, v56 :: v_dual_add_f32 v44, v44, v1
	v_dual_mul_f32 v103, 0x3e750f2a, v56 :: v_dual_fmamk_f32 v120, v34, 0x3e750f2a, v72
	v_dual_fmac_f32 v45, 0xbe750f2a, v32 :: v_dual_add_f32 v108, v108, v1
	v_dual_fmamk_f32 v46, v34, 0x3f52af12, v68 :: v_dual_add_f32 v35, v35, v0
	v_fmac_f32_e32 v68, 0xbf52af12, v34
	v_fmamk_f32 v32, v33, 0x3f116cb1, v67
	v_fma_f32 v67, 0x3f116cb1, v33, -v67
	v_dual_fmamk_f32 v118, v34, 0x3f6f5d39, v70 :: v_dual_add_f32 v37, v37, v1
	v_fmac_f32_e32 v70, 0xbf6f5d39, v34
	v_dual_mul_f32 v92, 0xbeb58ec6, v53 :: v_dual_fmamk_f32 v117, v33, 0xbeb58ec6, v69
	v_mul_f32_e32 v53, 0x3f116cb1, v53
	v_fma_f32 v69, 0xbeb58ec6, v33, -v69
	v_fmac_f32_e32 v72, 0xbe750f2a, v34
	v_dual_fmamk_f32 v121, v33, 0xbf3f9e67, v73 :: v_dual_add_f32 v60, v60, v1
	v_fma_f32 v73, 0xbf3f9e67, v33, -v73
	v_fmamk_f32 v124, v34, 0xbf7e222b, v76
	v_fmac_f32_e32 v76, 0x3f7e222b, v34
	v_dual_fmamk_f32 v125, v33, 0x3f62ad3f, v48 :: v_dual_add_f32 v62, v62, v1
	v_dual_fmamk_f32 v126, v34, 0xbeedf032, v47 :: v_dual_add_f32 v39, v39, v0
	;; [unrolled: 1-line block ×3, first 2 shown]
	v_fmamk_f32 v132, v36, 0xbf6f5d39, v84
	v_dual_fmac_f32 v84, 0x3f6f5d39, v36 :: v_dual_add_f32 v27, v29, v27
	v_dual_fmamk_f32 v134, v36, 0x3f52af12, v86 :: v_dual_add_f32 v107, v107, v0
	v_fmac_f32_e32 v86, 0xbf52af12, v36
	v_dual_mul_f32 v102, 0x3f116cb1, v57 :: v_dual_fmamk_f32 v129, v38, 0x3f116cb1, v81
	v_dual_fmamk_f32 v138, v52, 0x3df6dbef, v90 :: v_dual_add_f32 v59, v59, v0
	v_dual_fmamk_f32 v140, v52, 0x3f116cb1, v51 :: v_dual_add_f32 v109, v109, v0
	v_add_f32_e32 v61, v61, v0
	v_add_f32_e32 v111, v111, v0
	;; [unrolled: 1-line block ×4, first 2 shown]
	v_dual_add_f32 v65, v65, v0 :: v_dual_add_f32 v66, v66, v1
	v_add_f32_e32 v115, v115, v0
	v_dual_add_f32 v0, v31, v0 :: v_dual_fmamk_f32 v131, v36, 0x3e750f2a, v83
	v_dual_add_f32 v114, v114, v1 :: v_dual_fmac_f32 v83, 0xbe750f2a, v36
	v_dual_mul_f32 v104, 0xbf788fa5, v57 :: v_dual_fmamk_f32 v119, v33, 0xbf788fa5, v71
	v_fma_f32 v71, 0xbf788fa5, v33, -v71
	v_fmamk_f32 v122, v34, 0xbf29c268, v74
	v_dual_fmac_f32 v74, 0x3f29c268, v34 :: v_dual_fmamk_f32 v135, v36, 0x3f29c268, v49
	v_fma_f32 v75, 0x3df6dbef, v33, -v75
	v_fma_f32 v33, 0x3f62ad3f, v33, -v48
	v_dual_fmac_f32 v47, 0x3eedf032, v34 :: v_dual_add_f32 v112, v112, v1
	v_fmamk_f32 v34, v38, 0x3df6dbef, v77
	v_fma_f32 v48, 0x3df6dbef, v38, -v77
	v_dual_fmamk_f32 v77, v38, 0xbf788fa5, v78 :: v_dual_add_f32 v64, v64, v1
	v_fma_f32 v78, 0xbf788fa5, v38, -v78
	v_fma_f32 v79, 0xbeb58ec6, v38, -v79
	;; [unrolled: 1-line block ×5, first 2 shown]
	v_dual_fmamk_f32 v50, v36, 0x3f7e222b, v82 :: v_dual_fmamk_f32 v143, v54, 0x3f7e222b, v95
	v_dual_fmac_f32 v82, 0xbf7e222b, v36 :: v_dual_add_f32 v1, v45, v1
	v_dual_fmamk_f32 v133, v36, 0xbeedf032, v85 :: v_dual_fmamk_f32 v142, v54, 0xbeedf032, v94
	v_dual_fmac_f32 v85, 0x3eedf032, v36 :: v_dual_add_f32 v32, v32, v35
	v_fmac_f32_e32 v49, 0xbf29c268, v36
	v_dual_fmamk_f32 v36, v52, 0xbeb58ec6, v87 :: v_dual_add_f32 v37, v46, v37
	v_fma_f32 v87, 0xbeb58ec6, v52, -v87
	v_fma_f32 v88, 0xbf3f9e67, v52, -v88
	v_dual_fmamk_f32 v137, v52, 0x3f62ad3f, v89 :: v_dual_add_f32 v28, v30, v28
	v_fma_f32 v89, 0x3f62ad3f, v52, -v89
	v_fma_f32 v90, 0x3df6dbef, v52, -v90
	;; [unrolled: 3-line block ×3, first 2 shown]
	v_dual_fmamk_f32 v52, v54, 0x3f6f5d39, v92 :: v_dual_add_f32 v39, v67, v39
	v_dual_fmac_f32 v92, 0xbf6f5d39, v54 :: v_dual_add_f32 v107, v117, v107
	v_fmamk_f32 v141, v54, 0xbf29c268, v93
	v_dual_fmac_f32 v93, 0x3f29c268, v54 :: v_dual_add_f32 v44, v68, v44
	v_fmac_f32_e32 v95, 0xbf7e222b, v54
	v_dual_fmamk_f32 v31, v54, 0xbe750f2a, v96 :: v_dual_add_f32 v62, v72, v62
	v_fmamk_f32 v45, v54, 0xbf52af12, v53
	v_dual_fmac_f32 v53, 0x3f52af12, v54 :: v_dual_add_f32 v60, v70, v60
	v_dual_fmamk_f32 v29, v58, 0x3f29c268, v98 :: v_dual_add_f32 v66, v76, v66
	v_dual_fmamk_f32 v46, v55, 0x3f116cb1, v101 :: v_dual_add_f32 v59, v69, v59
	;; [unrolled: 1-line block ×3, first 2 shown]
	v_fmac_f32_e32 v102, 0xbf52af12, v58
	v_dual_add_f32 v70, v120, v110 :: v_dual_add_f32 v63, v73, v63
	v_dual_add_f32 v76, v126, v116 :: v_dual_add_f32 v25, v27, v25
	v_dual_mul_f32 v105, 0x3eedf032, v56 :: v_dual_fmac_f32 v94, 0x3eedf032, v54
	v_fmac_f32_e32 v96, 0x3e750f2a, v54
	v_fmamk_f32 v54, v55, 0xbf3f9e67, v97
	v_fmamk_f32 v30, v55, 0x3df6dbef, v99
	v_dual_fmamk_f32 v35, v58, 0xbf7e222b, v100 :: v_dual_add_f32 v0, v33, v0
	v_fmac_f32_e32 v100, 0x3f7e222b, v58
	v_fmamk_f32 v68, v55, 0xbf788fa5, v103
	v_fmamk_f32 v117, v58, 0xbe750f2a, v104
	v_dual_add_f32 v69, v119, v109 :: v_dual_add_f32 v72, v122, v112
	v_dual_add_f32 v61, v71, v61 :: v_dual_add_f32 v64, v74, v64
	v_add_f32_e32 v71, v121, v111
	v_add_f32_e32 v73, v123, v113
	;; [unrolled: 1-line block ×3, first 2 shown]
	v_dual_add_f32 v27, v34, v32 :: v_dual_add_f32 v32, v48, v39
	v_dual_add_f32 v34, v77, v107 :: v_dual_add_f32 v33, v82, v44
	;; [unrolled: 1-line block ×3, first 2 shown]
	v_add_f32_e32 v48, v132, v70
	v_dual_add_f32 v59, v84, v62 :: v_dual_add_f32 v0, v38, v0
	v_dual_add_f32 v62, v80, v63 :: v_dual_add_f32 v25, v25, v5
	;; [unrolled: 1-line block ×5, first 2 shown]
	s_delay_alu instid0(VALU_DEP_3)
	v_dual_add_f32 v47, v127, v69 :: v_dual_add_f32 v70, v130, v75
	v_dual_add_f32 v50, v79, v61 :: v_dual_add_f32 v63, v85, v64
	v_add_f32_e32 v34, v136, v34
	v_dual_add_f32 v64, v129, v73 :: v_dual_add_f32 v27, v36, v27
	v_add_f32_e32 v38, v93, v44
	;; [unrolled: 2-line block ×3, first 2 shown]
	v_dual_fmac_f32 v98, 0xbf29c268, v58 :: v_dual_add_f32 v61, v133, v72
	v_dual_add_f32 v26, v26, v7 :: v_dual_add_f32 v71, v135, v76
	v_add_f32_e32 v36, v141, v37
	v_add_f32_e32 v1, v49, v1
	;; [unrolled: 1-line block ×7, first 2 shown]
	v_dual_add_f32 v51, v51, v0 :: v_dual_add_f32 v0, v25, v13
	v_dual_add_f32 v74, v124, v114 :: v_dual_add_f32 v65, v81, v65
	v_add_f32_e32 v32, v87, v32
	v_dual_add_f32 v26, v26, v8 :: v_dual_add_f32 v45, v45, v71
	s_delay_alu instid0(VALU_DEP_4)
	v_add_f32_e32 v0, v0, v9
	v_fma_f32 v97, 0xbf3f9e67, v55, -v97
	v_dual_add_f32 v69, v134, v74 :: v_dual_add_f32 v28, v52, v28
	v_dual_add_f32 v33, v92, v33 :: v_dual_add_f32 v52, v90, v62
	v_dual_add_f32 v47, v89, v50 :: v_dual_add_f32 v50, v143, v61
	v_dual_add_f32 v61, v91, v65 :: v_dual_add_f32 v0, v0, v10
	v_dual_add_f32 v62, v96, v66 :: v_dual_add_f32 v53, v53, v1
	v_add_f32_e32 v1, v26, v24
	v_dual_add_f32 v25, v97, v32 :: v_dual_fmac_f32 v104, 0x3e750f2a, v58
	v_add_f32_e32 v32, v68, v49
	v_fma_f32 v99, 0x3df6dbef, v55, -v99
	s_delay_alu instid0(VALU_DEP_4) | instskip(SKIP_3) | instid1(VALU_DEP_4)
	v_add_f32_e32 v1, v1, v22
	v_fma_f32 v103, 0xbf788fa5, v55, -v103
	v_dual_add_f32 v9, v30, v34 :: v_dual_fmamk_f32 v10, v55, 0x3f62ad3f, v105
	v_add_f32_e32 v0, v0, v11
	v_dual_add_f32 v30, v102, v48 :: v_dual_add_f32 v1, v1, v17
	s_delay_alu instid0(VALU_DEP_4) | instskip(SKIP_1) | instid1(VALU_DEP_4)
	v_add_f32_e32 v34, v103, v52
	v_dual_add_f32 v31, v31, v69 :: v_dual_add_f32 v24, v29, v28
	v_dual_add_f32 v13, v54, v27 :: v_dual_add_f32 v0, v0, v12
	v_dual_add_f32 v27, v99, v37 :: v_dual_mul_f32 v12, 0xbf6f5d39, v56
	v_add_f32_e32 v1, v1, v15
	v_fmamk_f32 v11, v58, 0xbeedf032, v106
	v_fma_f32 v101, 0x3f116cb1, v55, -v101
	v_dual_add_f32 v63, v140, v70 :: v_dual_add_f32 v22, v35, v36
	v_dual_add_f32 v17, v100, v38 :: v_dual_add_f32 v36, v10, v60
	v_add_f32_e32 v28, v46, v39
	v_fma_f32 v10, 0x3f62ad3f, v55, -v105
	v_dual_add_f32 v46, v5, v6 :: v_dual_add_f32 v31, v11, v31
	v_dual_sub_f32 v48, v5, v6 :: v_dual_fmamk_f32 v11, v55, 0xbeb58ec6, v12
	v_dual_add_f32 v1, v1, v14 :: v_dual_mul_f32 v14, 0xbeb58ec6, v57
	v_dual_add_f32 v26, v98, v33 :: v_dual_add_f32 v15, v101, v47
	v_dual_sub_f32 v38, v7, v8 :: v_dual_add_f32 v33, v117, v50
	v_add_f32_e32 v35, v104, v59
	v_add_f32_e32 v47, v7, v8
	;; [unrolled: 1-line block ×3, first 2 shown]
	v_fmamk_f32 v10, v58, 0x3f6f5d39, v14
	v_dual_fmac_f32 v14, 0xbf6f5d39, v58 :: v_dual_add_f32 v29, v67, v44
	v_fmac_f32_e32 v106, 0x3eedf032, v58
	v_fma_f32 v7, 0xbeb58ec6, v55, -v12
	s_delay_alu instid0(VALU_DEP_4) | instskip(NEXT) | instid1(VALU_DEP_4)
	v_add_f32_e32 v45, v10, v45
	v_add_f32_e32 v50, v14, v53
	;; [unrolled: 1-line block ×3, first 2 shown]
	v_mul_f32_e32 v10, 0x3eedf032, v38
	v_mul_f32_e32 v12, 0x3f62ad3f, v47
	;; [unrolled: 1-line block ×4, first 2 shown]
	v_add_f32_e32 v39, v106, v62
	v_mul_f32_e32 v14, 0xbf29c268, v38
	v_mul_f32_e32 v52, 0xbeb58ec6, v47
	v_fmamk_f32 v6, v48, 0x3e750f2a, v8
	v_fmac_f32_e32 v8, 0xbe750f2a, v48
	v_fmamk_f32 v5, v46, 0xbf788fa5, v11
	v_add_f32_e32 v49, v7, v51
	v_fma_f32 v7, 0xbf788fa5, v46, -v11
	v_add_f32_e32 v6, v6, v24
	s_delay_alu instid0(VALU_DEP_4) | instskip(NEXT) | instid1(VALU_DEP_3)
	v_dual_add_f32 v8, v8, v26 :: v_dual_add_f32 v5, v5, v13
	v_add_f32_e32 v7, v7, v25
	v_fma_f32 v25, 0xbf3f9e67, v46, -v14
	v_fmamk_f32 v13, v48, 0xbeedf032, v12
	v_fmamk_f32 v11, v46, 0x3f62ad3f, v10
	s_delay_alu instid0(VALU_DEP_1) | instskip(SKIP_1) | instid1(VALU_DEP_4)
	v_dual_fmac_f32 v12, 0x3eedf032, v48 :: v_dual_add_f32 v9, v11, v9
	v_fma_f32 v11, 0x3f62ad3f, v46, -v10
	v_add_f32_e32 v10, v13, v22
	v_dual_mul_f32 v22, 0xbf3f9e67, v47 :: v_dual_fmamk_f32 v13, v46, 0xbf3f9e67, v14
	s_delay_alu instid0(VALU_DEP_3) | instskip(NEXT) | instid1(VALU_DEP_2)
	v_dual_add_f32 v12, v12, v17 :: v_dual_add_f32 v11, v11, v27
	v_fmamk_f32 v24, v48, 0x3f29c268, v22
	s_delay_alu instid0(VALU_DEP_1) | instskip(NEXT) | instid1(VALU_DEP_1)
	v_dual_mul_f32 v17, 0x3f52af12, v38 :: v_dual_add_f32 v14, v24, v29
	v_dual_add_f32 v13, v13, v28 :: v_dual_fmamk_f32 v26, v46, 0x3f116cb1, v17
	v_mul_f32_e32 v51, 0x3f116cb1, v47
	v_fma_f32 v17, 0x3f116cb1, v46, -v17
	v_add_f32_e32 v24, v25, v15
	s_delay_alu instid0(VALU_DEP_3) | instskip(NEXT) | instid1(VALU_DEP_3)
	v_dual_add_f32 v26, v26, v32 :: v_dual_fmamk_f32 v15, v48, 0xbf52af12, v51
	v_add_f32_e32 v28, v17, v34
	v_fmac_f32_e32 v22, 0xbf29c268, v48
	v_fmac_f32_e32 v51, 0x3f52af12, v48
	s_delay_alu instid0(VALU_DEP_4) | instskip(NEXT) | instid1(VALU_DEP_3)
	v_add_f32_e32 v27, v15, v33
	v_add_f32_e32 v25, v22, v30
	s_delay_alu instid0(VALU_DEP_3) | instskip(NEXT) | instid1(VALU_DEP_1)
	v_dual_mul_f32 v22, 0xbf6f5d39, v38 :: v_dual_add_f32 v29, v51, v35
	v_fmamk_f32 v15, v46, 0xbeb58ec6, v22
	v_fmamk_f32 v17, v48, 0x3f6f5d39, v52
	v_fma_f32 v22, 0xbeb58ec6, v46, -v22
	v_fmac_f32_e32 v52, 0xbf6f5d39, v48
	s_delay_alu instid0(VALU_DEP_4) | instskip(SKIP_1) | instid1(VALU_DEP_4)
	v_dual_add_f32 v30, v15, v36 :: v_dual_mul_f32 v15, 0x3f7e222b, v38
	v_mul_f32_e32 v38, 0x3df6dbef, v47
	v_dual_add_f32 v31, v17, v31 :: v_dual_add_f32 v32, v22, v37
	s_delay_alu instid0(VALU_DEP_2) | instskip(SKIP_4) | instid1(VALU_DEP_3)
	v_fmamk_f32 v22, v48, 0xbf7e222b, v38
	v_fmac_f32_e32 v38, 0x3f7e222b, v48
	v_fmamk_f32 v17, v46, 0x3df6dbef, v15
	v_fma_f32 v15, 0x3df6dbef, v46, -v15
	v_add_f32_e32 v33, v52, v39
	v_dual_add_f32 v37, v38, v50 :: v_dual_add_f32 v34, v17, v44
	s_delay_alu instid0(VALU_DEP_3)
	v_dual_add_f32 v36, v15, v49 :: v_dual_add_nc_u32 v15, 0x800, v40
	v_add_nc_u32_e32 v17, 0x1200, v40
	v_add_f32_e32 v35, v22, v45
	ds_store_2addr_b64 v40, v[0:1], v[5:6] offset1:156
	ds_store_2addr_b64 v15, v[9:10], v[13:14] offset0:56 offset1:212
	ds_store_2addr_b64 v17, v[26:27], v[30:31] offset0:48 offset1:204
	;; [unrolled: 1-line block ×5, first 2 shown]
	ds_store_b64 v40, v[7:8] offset:14976
	v_lshlrev_b32_e32 v0, 3, v16
	global_wb scope:SCOPE_SE
	s_wait_dscnt 0x0
	s_barrier_signal -1
	s_barrier_wait -1
	global_inv scope:SCOPE_SE
	ds_load_b64 v[4:5], v40
	v_sub_nc_u32_e32 v6, 0, v0
                                        ; implicit-def: $vgpr3
                                        ; implicit-def: $vgpr7
                                        ; implicit-def: $vgpr0_vgpr1
	v_cmpx_ne_u32_e32 0, v16
	s_wait_alu 0xfffe
	s_xor_b32 s1, exec_lo, s1
	s_cbranch_execz .LBB0_23
; %bb.22:
	ds_load_b64 v[2:3], v6 offset:16224
	s_wait_dscnt 0x0
	v_dual_mov_b32 v17, 0 :: v_dual_add_f32 v8, v3, v5
	s_delay_alu instid0(VALU_DEP_1) | instskip(SKIP_1) | instid1(VALU_DEP_3)
	v_lshlrev_b64_e32 v[0:1], 3, v[16:17]
	v_dual_sub_f32 v7, v4, v2 :: v_dual_add_f32 v2, v2, v4
	v_dual_sub_f32 v3, v5, v3 :: v_dual_mul_f32 v4, 0.5, v8
	s_delay_alu instid0(VALU_DEP_3) | instskip(SKIP_1) | instid1(VALU_DEP_4)
	v_add_co_u32 v0, s0, s4, v0
	s_wait_alu 0xf1ff
	v_add_co_ci_u32_e64 v1, s0, s5, v1, s0
	v_mul_f32_e32 v5, 0.5, v7
	v_mul_f32_e32 v3, 0.5, v3
	global_load_b64 v[0:1], v[0:1], off offset:16120
	s_wait_loadcnt 0x0
	v_mul_f32_e32 v7, v1, v5
	v_fma_f32 v8, v4, v1, v3
	v_fma_f32 v1, v4, v1, -v3
	s_delay_alu instid0(VALU_DEP_3) | instskip(SKIP_1) | instid1(VALU_DEP_4)
	v_fma_f32 v9, 0.5, v2, v7
	v_fma_f32 v2, v2, 0.5, -v7
	v_fma_f32 v7, -v0, v5, v8
	s_delay_alu instid0(VALU_DEP_4) | instskip(NEXT) | instid1(VALU_DEP_4)
	v_fma_f32 v3, -v0, v5, v1
	v_fmac_f32_e32 v9, v0, v4
	s_delay_alu instid0(VALU_DEP_4)
	v_fma_f32 v2, -v0, v4, v2
	v_dual_mov_b32 v0, v16 :: v_dual_mov_b32 v1, v17
                                        ; implicit-def: $vgpr4_vgpr5
	ds_store_b32 v40, v9
.LBB0_23:
	s_wait_alu 0xfffe
	s_and_not1_saveexec_b32 s0, s1
	s_cbranch_execz .LBB0_25
; %bb.24:
	s_wait_dscnt 0x0
	v_dual_mov_b32 v7, 0 :: v_dual_add_f32 v8, v4, v5
	v_sub_f32_e32 v2, v4, v5
	ds_load_b32 v0, v7 offset:8116
	v_mov_b32_e32 v3, v7
	s_wait_dscnt 0x0
	v_xor_b32_e32 v4, 0x80000000, v0
	v_mov_b32_e32 v0, 0
	v_mov_b32_e32 v1, 0
	ds_store_b32 v40, v8
	ds_store_b32 v7, v4 offset:8116
.LBB0_25:
	s_wait_alu 0xfffe
	s_or_b32 exec_lo, exec_lo, s0
	v_mov_b32_e32 v22, 0
	v_lshlrev_b64_e32 v[0:1], 3, v[0:1]
	s_wait_dscnt 0x0
	s_delay_alu instid0(VALU_DEP_2) | instskip(SKIP_1) | instid1(VALU_DEP_2)
	v_lshlrev_b64_e32 v[4:5], 3, v[21:22]
	v_dual_mov_b32 v24, v22 :: v_dual_mov_b32 v21, v22
	v_add_co_u32 v4, s0, s4, v4
	s_wait_alu 0xf1ff
	s_delay_alu instid0(VALU_DEP_3) | instskip(SKIP_2) | instid1(VALU_DEP_1)
	v_add_co_ci_u32_e64 v5, s0, s5, v5, s0
	global_load_b64 v[8:9], v[4:5], off offset:16120
	v_lshlrev_b64_e32 v[4:5], 3, v[23:24]
	v_add_co_u32 v4, s0, s4, v4
	s_wait_alu 0xf1ff
	s_delay_alu instid0(VALU_DEP_2) | instskip(SKIP_2) | instid1(VALU_DEP_1)
	v_add_co_ci_u32_e64 v5, s0, s5, v5, s0
	global_load_b64 v[10:11], v[4:5], off offset:16120
	v_lshlrev_b64_e32 v[4:5], 3, v[20:21]
	v_add_co_u32 v4, s0, s4, v4
	s_wait_alu 0xf1ff
	s_delay_alu instid0(VALU_DEP_2)
	v_add_co_ci_u32_e64 v5, s0, s5, v5, s0
	s_add_nc_u64 s[0:1], s[4:5], 0x3ef8
	global_load_b64 v[12:13], v[4:5], off offset:16120
	s_wait_alu 0xfffe
	v_add_co_u32 v4, s0, s0, v0
	s_wait_alu 0xf1ff
	v_add_co_ci_u32_e64 v5, s0, s1, v1, s0
	s_clause 0x1
	global_load_b64 v[14:15], v[4:5], off offset:4992
	global_load_b64 v[20:21], v[4:5], off offset:6240
	ds_store_b32 v40, v7 offset:4
	ds_store_b64 v6, v[2:3] offset:16224
	ds_load_b64 v[2:3], v43
	ds_load_b64 v[22:23], v6 offset:14976
	s_mov_b32 s1, exec_lo
	s_wait_dscnt 0x0
	v_add_f32_e32 v17, v3, v23
	v_sub_f32_e32 v3, v3, v23
	s_delay_alu instid0(VALU_DEP_2) | instskip(SKIP_1) | instid1(VALU_DEP_3)
	v_mul_f32_e32 v17, 0.5, v17
	v_sub_f32_e32 v7, v2, v22
	v_dual_add_f32 v22, v2, v22 :: v_dual_mul_f32 v3, 0.5, v3
	s_delay_alu instid0(VALU_DEP_2) | instskip(SKIP_1) | instid1(VALU_DEP_1)
	v_mul_f32_e32 v7, 0.5, v7
	s_wait_loadcnt 0x4
	v_mul_f32_e32 v23, v9, v7
	s_delay_alu instid0(VALU_DEP_3) | instskip(SKIP_1) | instid1(VALU_DEP_3)
	v_fma_f32 v24, v17, v9, v3
	v_fma_f32 v9, v17, v9, -v3
	v_fma_f32 v2, 0.5, v22, v23
	v_fma_f32 v22, v22, 0.5, -v23
	s_delay_alu instid0(VALU_DEP_4) | instskip(NEXT) | instid1(VALU_DEP_4)
	v_fma_f32 v3, -v8, v7, v24
	v_fma_f32 v9, -v8, v7, v9
	s_delay_alu instid0(VALU_DEP_4) | instskip(NEXT) | instid1(VALU_DEP_4)
	v_fmac_f32_e32 v2, v8, v17
	v_fma_f32 v8, -v8, v17, v22
	ds_store_b64 v43, v[2:3]
	ds_store_b64 v6, v[8:9] offset:14976
	ds_load_b64 v[2:3], v42
	ds_load_b64 v[7:8], v6 offset:13728
	s_wait_dscnt 0x0
	v_sub_f32_e32 v9, v2, v7
	v_add_f32_e32 v17, v3, v8
	v_sub_f32_e32 v3, v3, v8
	s_delay_alu instid0(VALU_DEP_3) | instskip(NEXT) | instid1(VALU_DEP_3)
	v_dual_add_f32 v7, v2, v7 :: v_dual_mul_f32 v8, 0.5, v9
	v_mul_f32_e32 v9, 0.5, v17
	s_delay_alu instid0(VALU_DEP_3) | instskip(SKIP_1) | instid1(VALU_DEP_3)
	v_mul_f32_e32 v3, 0.5, v3
	s_wait_loadcnt 0x3
	v_mul_f32_e32 v17, v11, v8
	s_delay_alu instid0(VALU_DEP_2) | instskip(SKIP_1) | instid1(VALU_DEP_3)
	v_fma_f32 v22, v9, v11, v3
	v_fma_f32 v11, v9, v11, -v3
	v_fma_f32 v2, 0.5, v7, v17
	v_fma_f32 v7, v7, 0.5, -v17
	s_delay_alu instid0(VALU_DEP_4) | instskip(NEXT) | instid1(VALU_DEP_4)
	v_fma_f32 v3, -v10, v8, v22
	v_fma_f32 v8, -v10, v8, v11
	s_delay_alu instid0(VALU_DEP_4) | instskip(NEXT) | instid1(VALU_DEP_4)
	v_fmac_f32_e32 v2, v10, v9
	v_fma_f32 v7, -v10, v9, v7
	ds_store_b64 v42, v[2:3]
	ds_store_b64 v6, v[7:8] offset:13728
	ds_load_b64 v[2:3], v41
	ds_load_b64 v[7:8], v6 offset:12480
	s_wait_dscnt 0x0
	v_dual_sub_f32 v9, v2, v7 :: v_dual_add_f32 v10, v3, v8
	v_sub_f32_e32 v3, v3, v8
	s_delay_alu instid0(VALU_DEP_2) | instskip(NEXT) | instid1(VALU_DEP_3)
	v_dual_add_f32 v7, v2, v7 :: v_dual_mul_f32 v8, 0.5, v9
	v_mul_f32_e32 v9, 0.5, v10
	s_wait_loadcnt 0x2
	s_delay_alu instid0(VALU_DEP_2) | instskip(NEXT) | instid1(VALU_DEP_1)
	v_dual_mul_f32 v3, 0.5, v3 :: v_dual_mul_f32 v10, v13, v8
	v_fma_f32 v11, v9, v13, v3
	v_fma_f32 v13, v9, v13, -v3
	s_delay_alu instid0(VALU_DEP_3) | instskip(SKIP_1) | instid1(VALU_DEP_4)
	v_fma_f32 v2, 0.5, v7, v10
	v_fma_f32 v7, v7, 0.5, -v10
	v_fma_f32 v3, -v12, v8, v11
	s_delay_alu instid0(VALU_DEP_4) | instskip(NEXT) | instid1(VALU_DEP_4)
	v_fma_f32 v8, -v12, v8, v13
	v_fmac_f32_e32 v2, v12, v9
	s_delay_alu instid0(VALU_DEP_4)
	v_fma_f32 v7, -v12, v9, v7
	ds_store_b64 v41, v[2:3]
	ds_store_b64 v6, v[7:8] offset:12480
	ds_load_b64 v[2:3], v40 offset:4992
	ds_load_b64 v[7:8], v6 offset:11232
	s_wait_dscnt 0x0
	v_dual_sub_f32 v9, v2, v7 :: v_dual_add_f32 v10, v3, v8
	v_sub_f32_e32 v3, v3, v8
	s_delay_alu instid0(VALU_DEP_2) | instskip(NEXT) | instid1(VALU_DEP_3)
	v_dual_add_f32 v7, v2, v7 :: v_dual_mul_f32 v8, 0.5, v9
	v_mul_f32_e32 v9, 0.5, v10
	s_wait_loadcnt 0x1
	s_delay_alu instid0(VALU_DEP_2) | instskip(NEXT) | instid1(VALU_DEP_1)
	v_dual_mul_f32 v3, 0.5, v3 :: v_dual_mul_f32 v10, v15, v8
	v_fma_f32 v11, v9, v15, v3
	v_fma_f32 v12, v9, v15, -v3
	s_delay_alu instid0(VALU_DEP_3) | instskip(SKIP_1) | instid1(VALU_DEP_4)
	v_fma_f32 v2, 0.5, v7, v10
	v_fma_f32 v7, v7, 0.5, -v10
	v_fma_f32 v3, -v14, v8, v11
	s_delay_alu instid0(VALU_DEP_4) | instskip(NEXT) | instid1(VALU_DEP_4)
	v_fma_f32 v8, -v14, v8, v12
	v_fmac_f32_e32 v2, v14, v9
	s_delay_alu instid0(VALU_DEP_4)
	v_fma_f32 v7, -v14, v9, v7
	ds_store_b64 v40, v[2:3] offset:4992
	ds_store_b64 v6, v[7:8] offset:11232
	ds_load_b64 v[2:3], v40 offset:6240
	ds_load_b64 v[7:8], v6 offset:9984
	s_wait_dscnt 0x0
	v_dual_sub_f32 v9, v2, v7 :: v_dual_add_f32 v10, v3, v8
	v_sub_f32_e32 v3, v3, v8
	s_delay_alu instid0(VALU_DEP_2) | instskip(NEXT) | instid1(VALU_DEP_3)
	v_dual_add_f32 v7, v2, v7 :: v_dual_mul_f32 v8, 0.5, v9
	v_mul_f32_e32 v9, 0.5, v10
	s_wait_loadcnt 0x0
	s_delay_alu instid0(VALU_DEP_2) | instskip(NEXT) | instid1(VALU_DEP_1)
	v_dual_mul_f32 v3, 0.5, v3 :: v_dual_mul_f32 v10, v21, v8
	v_fma_f32 v11, v9, v21, v3
	v_fma_f32 v12, v9, v21, -v3
	s_delay_alu instid0(VALU_DEP_3) | instskip(SKIP_1) | instid1(VALU_DEP_4)
	v_fma_f32 v2, 0.5, v7, v10
	v_fma_f32 v7, v7, 0.5, -v10
	v_fma_f32 v3, -v20, v8, v11
	s_delay_alu instid0(VALU_DEP_4) | instskip(NEXT) | instid1(VALU_DEP_4)
	v_fma_f32 v8, -v20, v8, v12
	v_fmac_f32_e32 v2, v20, v9
	s_delay_alu instid0(VALU_DEP_4)
	v_fma_f32 v7, -v20, v9, v7
	ds_store_b64 v40, v[2:3] offset:6240
	ds_store_b64 v6, v[7:8] offset:9984
	v_cmpx_gt_u32_e32 0x4e, v16
	s_cbranch_execz .LBB0_27
; %bb.26:
	global_load_b64 v[2:3], v[4:5], off offset:7488
	ds_load_b64 v[4:5], v40 offset:7488
	ds_load_b64 v[7:8], v6 offset:8736
	s_wait_dscnt 0x0
	v_dual_sub_f32 v9, v4, v7 :: v_dual_add_f32 v10, v5, v8
	v_dual_sub_f32 v5, v5, v8 :: v_dual_add_f32 v4, v4, v7
	s_delay_alu instid0(VALU_DEP_2) | instskip(NEXT) | instid1(VALU_DEP_2)
	v_dual_mul_f32 v8, 0.5, v9 :: v_dual_mul_f32 v9, 0.5, v10
	v_mul_f32_e32 v5, 0.5, v5
	s_wait_loadcnt 0x0
	s_delay_alu instid0(VALU_DEP_2) | instskip(NEXT) | instid1(VALU_DEP_2)
	v_mul_f32_e32 v7, v3, v8
	v_fma_f32 v10, v9, v3, v5
	v_fma_f32 v5, v9, v3, -v5
	s_delay_alu instid0(VALU_DEP_3) | instskip(SKIP_1) | instid1(VALU_DEP_4)
	v_fma_f32 v3, 0.5, v4, v7
	v_fma_f32 v7, v4, 0.5, -v7
	v_fma_f32 v4, -v2, v8, v10
	s_delay_alu instid0(VALU_DEP_4) | instskip(NEXT) | instid1(VALU_DEP_4)
	v_fma_f32 v8, -v2, v8, v5
	v_fmac_f32_e32 v3, v2, v9
	s_delay_alu instid0(VALU_DEP_4)
	v_fma_f32 v7, -v2, v9, v7
	ds_store_b64 v40, v[3:4] offset:7488
	ds_store_b64 v6, v[7:8] offset:8736
.LBB0_27:
	s_wait_alu 0xfffe
	s_or_b32 exec_lo, exec_lo, s1
	global_wb scope:SCOPE_SE
	s_wait_dscnt 0x0
	s_barrier_signal -1
	s_barrier_wait -1
	global_inv scope:SCOPE_SE
	s_and_saveexec_b32 s0, vcc_lo
	s_cbranch_execz .LBB0_30
; %bb.28:
	v_add_nc_u32_e32 v2, 0x800, v40
	v_add_nc_u32_e32 v3, 0x1200, v40
	;; [unrolled: 1-line block ×4, first 2 shown]
	ds_load_2addr_b64 v[4:7], v40 offset1:156
	ds_load_2addr_b64 v[8:11], v2 offset0:56 offset1:212
	ds_load_2addr_b64 v[12:15], v3 offset0:48 offset1:204
	;; [unrolled: 1-line block ×3, first 2 shown]
	v_add_nc_u32_e32 v17, 0x2400, v40
	v_add_co_u32 v2, vcc_lo, s8, v18
	s_wait_alu 0xfffd
	v_add_co_ci_u32_e32 v3, vcc_lo, s9, v19, vcc_lo
	ds_load_2addr_b64 v[24:27], v17 offset0:96 offset1:252
	ds_load_2addr_b64 v[28:31], v28 offset0:24 offset1:180
	ds_load_b64 v[17:18], v40 offset:14976
	v_add_co_u32 v0, vcc_lo, v2, v0
	s_wait_alu 0xfffd
	v_add_co_ci_u32_e32 v1, vcc_lo, v3, v1, vcc_lo
	v_cmp_eq_u32_e32 vcc_lo, 0x9b, v16
	s_wait_dscnt 0x6
	s_clause 0x1
	global_store_b64 v[0:1], v[4:5], off
	global_store_b64 v[0:1], v[6:7], off offset:1248
	s_wait_dscnt 0x5
	s_clause 0x1
	global_store_b64 v[0:1], v[8:9], off offset:2496
	global_store_b64 v[0:1], v[10:11], off offset:3744
	s_wait_dscnt 0x4
	s_clause 0x1
	global_store_b64 v[0:1], v[12:13], off offset:4992
	global_store_b64 v[0:1], v[14:15], off offset:6240
	s_wait_dscnt 0x3
	s_clause 0x1
	global_store_b64 v[0:1], v[20:21], off offset:7488
	global_store_b64 v[0:1], v[22:23], off offset:8736
	s_wait_dscnt 0x2
	s_clause 0x1
	global_store_b64 v[0:1], v[24:25], off offset:9984
	global_store_b64 v[0:1], v[26:27], off offset:11232
	s_wait_dscnt 0x1
	s_clause 0x1
	global_store_b64 v[0:1], v[28:29], off offset:12480
	global_store_b64 v[0:1], v[30:31], off offset:13728
	s_wait_dscnt 0x0
	global_store_b64 v[0:1], v[17:18], off offset:14976
	s_and_b32 exec_lo, exec_lo, vcc_lo
	s_cbranch_execz .LBB0_30
; %bb.29:
	v_mov_b32_e32 v0, 0
	ds_load_b64 v[0:1], v0 offset:16224
	s_wait_dscnt 0x0
	global_store_b64 v[2:3], v[0:1], off offset:16224
.LBB0_30:
	s_nop 0
	s_sendmsg sendmsg(MSG_DEALLOC_VGPRS)
	s_endpgm
	.section	.rodata,"a",@progbits
	.p2align	6, 0x0
	.amdhsa_kernel fft_rtc_back_len2028_factors_13_4_3_13_wgs_156_tpt_156_sp_ip_CI_unitstride_sbrr_R2C_dirReg
		.amdhsa_group_segment_fixed_size 0
		.amdhsa_private_segment_fixed_size 0
		.amdhsa_kernarg_size 88
		.amdhsa_user_sgpr_count 2
		.amdhsa_user_sgpr_dispatch_ptr 0
		.amdhsa_user_sgpr_queue_ptr 0
		.amdhsa_user_sgpr_kernarg_segment_ptr 1
		.amdhsa_user_sgpr_dispatch_id 0
		.amdhsa_user_sgpr_private_segment_size 0
		.amdhsa_wavefront_size32 1
		.amdhsa_uses_dynamic_stack 0
		.amdhsa_enable_private_segment 0
		.amdhsa_system_sgpr_workgroup_id_x 1
		.amdhsa_system_sgpr_workgroup_id_y 0
		.amdhsa_system_sgpr_workgroup_id_z 0
		.amdhsa_system_sgpr_workgroup_info 0
		.amdhsa_system_vgpr_workitem_id 0
		.amdhsa_next_free_vgpr 144
		.amdhsa_next_free_sgpr 32
		.amdhsa_reserve_vcc 1
		.amdhsa_float_round_mode_32 0
		.amdhsa_float_round_mode_16_64 0
		.amdhsa_float_denorm_mode_32 3
		.amdhsa_float_denorm_mode_16_64 3
		.amdhsa_fp16_overflow 0
		.amdhsa_workgroup_processor_mode 1
		.amdhsa_memory_ordered 1
		.amdhsa_forward_progress 0
		.amdhsa_round_robin_scheduling 0
		.amdhsa_exception_fp_ieee_invalid_op 0
		.amdhsa_exception_fp_denorm_src 0
		.amdhsa_exception_fp_ieee_div_zero 0
		.amdhsa_exception_fp_ieee_overflow 0
		.amdhsa_exception_fp_ieee_underflow 0
		.amdhsa_exception_fp_ieee_inexact 0
		.amdhsa_exception_int_div_zero 0
	.end_amdhsa_kernel
	.text
.Lfunc_end0:
	.size	fft_rtc_back_len2028_factors_13_4_3_13_wgs_156_tpt_156_sp_ip_CI_unitstride_sbrr_R2C_dirReg, .Lfunc_end0-fft_rtc_back_len2028_factors_13_4_3_13_wgs_156_tpt_156_sp_ip_CI_unitstride_sbrr_R2C_dirReg
                                        ; -- End function
	.section	.AMDGPU.csdata,"",@progbits
; Kernel info:
; codeLenInByte = 12784
; NumSgprs: 34
; NumVgprs: 144
; ScratchSize: 0
; MemoryBound: 0
; FloatMode: 240
; IeeeMode: 1
; LDSByteSize: 0 bytes/workgroup (compile time only)
; SGPRBlocks: 4
; VGPRBlocks: 17
; NumSGPRsForWavesPerEU: 34
; NumVGPRsForWavesPerEU: 144
; Occupancy: 10
; WaveLimiterHint : 1
; COMPUTE_PGM_RSRC2:SCRATCH_EN: 0
; COMPUTE_PGM_RSRC2:USER_SGPR: 2
; COMPUTE_PGM_RSRC2:TRAP_HANDLER: 0
; COMPUTE_PGM_RSRC2:TGID_X_EN: 1
; COMPUTE_PGM_RSRC2:TGID_Y_EN: 0
; COMPUTE_PGM_RSRC2:TGID_Z_EN: 0
; COMPUTE_PGM_RSRC2:TIDIG_COMP_CNT: 0
	.text
	.p2alignl 7, 3214868480
	.fill 96, 4, 3214868480
	.type	__hip_cuid_dd25afcd20e22fb3,@object ; @__hip_cuid_dd25afcd20e22fb3
	.section	.bss,"aw",@nobits
	.globl	__hip_cuid_dd25afcd20e22fb3
__hip_cuid_dd25afcd20e22fb3:
	.byte	0                               ; 0x0
	.size	__hip_cuid_dd25afcd20e22fb3, 1

	.ident	"AMD clang version 19.0.0git (https://github.com/RadeonOpenCompute/llvm-project roc-6.4.0 25133 c7fe45cf4b819c5991fe208aaa96edf142730f1d)"
	.section	".note.GNU-stack","",@progbits
	.addrsig
	.addrsig_sym __hip_cuid_dd25afcd20e22fb3
	.amdgpu_metadata
---
amdhsa.kernels:
  - .args:
      - .actual_access:  read_only
        .address_space:  global
        .offset:         0
        .size:           8
        .value_kind:     global_buffer
      - .offset:         8
        .size:           8
        .value_kind:     by_value
      - .actual_access:  read_only
        .address_space:  global
        .offset:         16
        .size:           8
        .value_kind:     global_buffer
      - .actual_access:  read_only
        .address_space:  global
        .offset:         24
        .size:           8
        .value_kind:     global_buffer
      - .offset:         32
        .size:           8
        .value_kind:     by_value
      - .actual_access:  read_only
        .address_space:  global
        .offset:         40
        .size:           8
        .value_kind:     global_buffer
      - .actual_access:  read_only
        .address_space:  global
        .offset:         48
        .size:           8
        .value_kind:     global_buffer
      - .offset:         56
        .size:           4
        .value_kind:     by_value
      - .actual_access:  read_only
        .address_space:  global
        .offset:         64
        .size:           8
        .value_kind:     global_buffer
      - .actual_access:  read_only
        .address_space:  global
        .offset:         72
        .size:           8
        .value_kind:     global_buffer
      - .address_space:  global
        .offset:         80
        .size:           8
        .value_kind:     global_buffer
    .group_segment_fixed_size: 0
    .kernarg_segment_align: 8
    .kernarg_segment_size: 88
    .language:       OpenCL C
    .language_version:
      - 2
      - 0
    .max_flat_workgroup_size: 156
    .name:           fft_rtc_back_len2028_factors_13_4_3_13_wgs_156_tpt_156_sp_ip_CI_unitstride_sbrr_R2C_dirReg
    .private_segment_fixed_size: 0
    .sgpr_count:     34
    .sgpr_spill_count: 0
    .symbol:         fft_rtc_back_len2028_factors_13_4_3_13_wgs_156_tpt_156_sp_ip_CI_unitstride_sbrr_R2C_dirReg.kd
    .uniform_work_group_size: 1
    .uses_dynamic_stack: false
    .vgpr_count:     144
    .vgpr_spill_count: 0
    .wavefront_size: 32
    .workgroup_processor_mode: 1
amdhsa.target:   amdgcn-amd-amdhsa--gfx1201
amdhsa.version:
  - 1
  - 2
...

	.end_amdgpu_metadata
